;; amdgpu-corpus repo=ROCm/rocFFT kind=compiled arch=gfx1201 opt=O3
	.text
	.amdgcn_target "amdgcn-amd-amdhsa--gfx1201"
	.amdhsa_code_object_version 6
	.protected	bluestein_single_back_len576_dim1_half_op_CI_CI ; -- Begin function bluestein_single_back_len576_dim1_half_op_CI_CI
	.globl	bluestein_single_back_len576_dim1_half_op_CI_CI
	.p2align	8
	.type	bluestein_single_back_len576_dim1_half_op_CI_CI,@function
bluestein_single_back_len576_dim1_half_op_CI_CI: ; @bluestein_single_back_len576_dim1_half_op_CI_CI
; %bb.0:
	s_load_b128 s[8:11], s[0:1], 0x28
	v_mul_u32_u24_e32 v1, 0x2ab, v0
	s_mov_b32 s2, exec_lo
	v_mov_b32_e32 v13, 0
	s_delay_alu instid0(VALU_DEP_2) | instskip(NEXT) | instid1(VALU_DEP_1)
	v_lshrrev_b32_e32 v1, 16, v1
	v_add_nc_u32_e32 v12, ttmp9, v1
	s_wait_kmcnt 0x0
	s_delay_alu instid0(VALU_DEP_1)
	v_cmpx_gt_u64_e64 s[8:9], v[12:13]
	s_cbranch_execz .LBB0_15
; %bb.1:
	s_clause 0x1
	s_load_b64 s[20:21], s[0:1], 0x0
	s_load_b64 s[8:9], s[0:1], 0x38
	v_mul_lo_u16 v1, 0x60, v1
	s_delay_alu instid0(VALU_DEP_1) | instskip(NEXT) | instid1(VALU_DEP_1)
	v_sub_nc_u16 v0, v0, v1
	v_and_b32_e32 v28, 0xffff, v0
	v_cmp_gt_u16_e32 vcc_lo, 36, v0
	s_delay_alu instid0(VALU_DEP_2)
	v_lshlrev_b32_e32 v27, 2, v28
	s_and_saveexec_b32 s3, vcc_lo
	s_cbranch_execz .LBB0_3
; %bb.2:
	s_load_b64 s[4:5], s[0:1], 0x18
	s_wait_kmcnt 0x0
	s_load_b128 s[4:7], s[4:5], 0x0
	s_wait_kmcnt 0x0
	v_mad_co_u64_u32 v[0:1], null, s6, v12, 0
	v_mad_co_u64_u32 v[2:3], null, s4, v28, 0
	s_delay_alu instid0(VALU_DEP_1) | instskip(NEXT) | instid1(VALU_DEP_1)
	v_mad_co_u64_u32 v[4:5], null, s7, v12, v[1:2]
	v_mad_co_u64_u32 v[5:6], null, s5, v28, v[3:4]
	v_mov_b32_e32 v1, v4
	s_mul_u64 s[4:5], s[4:5], 0x90
	s_delay_alu instid0(VALU_DEP_1) | instskip(NEXT) | instid1(VALU_DEP_3)
	v_lshlrev_b64_e32 v[0:1], 2, v[0:1]
	v_mov_b32_e32 v3, v5
	s_clause 0x7
	global_load_b32 v4, v27, s[20:21]
	global_load_b32 v5, v27, s[20:21] offset:144
	global_load_b32 v6, v27, s[20:21] offset:288
	;; [unrolled: 1-line block ×7, first 2 shown]
	v_add_co_u32 v0, s2, s10, v0
	v_lshlrev_b64_e32 v[2:3], 2, v[2:3]
	v_add_co_ci_u32_e64 v1, s2, s11, v1, s2
	s_delay_alu instid0(VALU_DEP_2) | instskip(SKIP_1) | instid1(VALU_DEP_2)
	v_add_co_u32 v0, s2, v0, v2
	s_wait_alu 0xf1ff
	v_add_co_ci_u32_e64 v1, s2, v1, v3, s2
	global_load_b32 v13, v[0:1], off
	s_wait_alu 0xfffe
	v_add_co_u32 v0, s2, v0, s4
	s_wait_alu 0xf1ff
	v_add_co_ci_u32_e64 v1, s2, s5, v1, s2
	s_clause 0x7
	global_load_b32 v14, v27, s[20:21] offset:1152
	global_load_b32 v15, v27, s[20:21] offset:1296
	global_load_b32 v16, v27, s[20:21] offset:1440
	global_load_b32 v17, v27, s[20:21] offset:1584
	global_load_b32 v18, v27, s[20:21] offset:1728
	global_load_b32 v19, v27, s[20:21] offset:1872
	global_load_b32 v20, v27, s[20:21] offset:2016
	global_load_b32 v21, v27, s[20:21] offset:2160
	v_add_co_u32 v2, s2, v0, s4
	s_wait_alu 0xf1ff
	v_add_co_ci_u32_e64 v3, s2, s5, v1, s2
	global_load_b32 v22, v[0:1], off
	v_add_co_u32 v0, s2, v2, s4
	s_wait_alu 0xf1ff
	v_add_co_ci_u32_e64 v1, s2, s5, v3, s2
	s_clause 0x1
	global_load_b32 v23, v[2:3], off
	global_load_b32 v24, v[0:1], off
	v_add_co_u32 v0, s2, v0, s4
	s_wait_alu 0xf1ff
	v_add_co_ci_u32_e64 v1, s2, s5, v1, s2
	s_delay_alu instid0(VALU_DEP_2) | instskip(SKIP_1) | instid1(VALU_DEP_2)
	v_add_co_u32 v2, s2, v0, s4
	s_wait_alu 0xf1ff
	v_add_co_ci_u32_e64 v3, s2, s5, v1, s2
	global_load_b32 v25, v[0:1], off
	v_add_co_u32 v0, s2, v2, s4
	s_wait_alu 0xf1ff
	v_add_co_ci_u32_e64 v1, s2, s5, v3, s2
	global_load_b32 v26, v[2:3], off
	global_load_b32 v29, v[0:1], off
	v_add_co_u32 v0, s2, v0, s4
	s_wait_alu 0xf1ff
	v_add_co_ci_u32_e64 v1, s2, s5, v1, s2
	s_delay_alu instid0(VALU_DEP_2) | instskip(SKIP_1) | instid1(VALU_DEP_2)
	v_add_co_u32 v2, s2, v0, s4
	s_wait_alu 0xf1ff
	v_add_co_ci_u32_e64 v3, s2, s5, v1, s2
	global_load_b32 v30, v[0:1], off
	v_add_co_u32 v0, s2, v2, s4
	s_wait_alu 0xf1ff
	v_add_co_ci_u32_e64 v1, s2, s5, v3, s2
	global_load_b32 v31, v[2:3], off
	global_load_b32 v32, v[0:1], off
	v_add_co_u32 v0, s2, v0, s4
	s_wait_alu 0xf1ff
	v_add_co_ci_u32_e64 v1, s2, s5, v1, s2
	s_delay_alu instid0(VALU_DEP_2) | instskip(SKIP_1) | instid1(VALU_DEP_2)
	v_add_co_u32 v2, s2, v0, s4
	s_wait_alu 0xf1ff
	v_add_co_ci_u32_e64 v3, s2, s5, v1, s2
	global_load_b32 v33, v[0:1], off
	v_add_co_u32 v0, s2, v2, s4
	s_wait_alu 0xf1ff
	v_add_co_ci_u32_e64 v1, s2, s5, v3, s2
	global_load_b32 v34, v[2:3], off
	v_add_co_u32 v2, s2, v0, s4
	s_wait_alu 0xf1ff
	v_add_co_ci_u32_e64 v3, s2, s5, v1, s2
	global_load_b32 v35, v[0:1], off
	v_add_co_u32 v0, s2, v2, s4
	s_wait_alu 0xf1ff
	v_add_co_ci_u32_e64 v1, s2, s5, v3, s2
	;; [unrolled: 4-line block ×3, first 2 shown]
	global_load_b32 v0, v[0:1], off
	global_load_b32 v1, v[2:3], off
	v_add_nc_u32_e32 v2, 0x400, v27
	s_wait_loadcnt 0x1f
	v_lshrrev_b32_e32 v3, 16, v4
	s_wait_loadcnt 0x1e
	v_lshrrev_b32_e32 v37, 16, v5
	;; [unrolled: 2-line block ×10, first 2 shown]
	v_lshrrev_b32_e32 v48, 16, v13
	v_mul_f16_e32 v52, v3, v13
	s_wait_loadcnt 0x14
	v_lshrrev_b32_e32 v46, 16, v16
	s_wait_loadcnt 0x13
	v_lshrrev_b32_e32 v47, 16, v17
	;; [unrolled: 2-line block ×3, first 2 shown]
	v_mul_f16_e32 v3, v3, v48
	v_fma_f16 v48, v4, v48, -v52
	s_wait_loadcnt 0x11
	v_lshrrev_b32_e32 v50, 16, v19
	s_wait_loadcnt 0x10
	v_lshrrev_b32_e32 v51, 16, v20
	;; [unrolled: 2-line block ×4, first 2 shown]
	v_mul_f16_e32 v55, v37, v22
	v_fmac_f16_e32 v3, v4, v13
	s_delay_alu instid0(VALU_DEP_3)
	v_mul_f16_e32 v4, v37, v53
	s_wait_loadcnt 0xd
	v_lshrrev_b32_e32 v13, 16, v23
	v_fma_f16 v37, v5, v53, -v55
	v_mul_f16_e32 v52, v38, v23
	v_pack_b32_f16 v3, v3, v48
	v_fmac_f16_e32 v4, v5, v22
	v_mul_f16_e32 v5, v38, v13
	s_wait_loadcnt 0xc
	v_lshrrev_b32_e32 v22, 16, v24
	v_mul_f16_e32 v38, v39, v24
	v_fma_f16 v13, v6, v13, -v52
	v_pack_b32_f16 v4, v4, v37
	v_fmac_f16_e32 v5, v6, v23
	v_mul_f16_e32 v6, v39, v22
	s_wait_loadcnt 0xb
	v_lshrrev_b32_e32 v23, 16, v25
	v_fma_f16 v22, v7, v22, -v38
	v_mul_f16_e32 v37, v40, v25
	ds_store_2addr_b32 v27, v3, v4 offset1:36
	v_pack_b32_f16 v3, v5, v13
	v_fmac_f16_e32 v6, v7, v24
	v_mul_f16_e32 v4, v40, v23
	s_wait_loadcnt 0xa
	v_lshrrev_b32_e32 v5, 16, v26
	v_mul_f16_e32 v7, v41, v26
	v_fma_f16 v13, v8, v23, -v37
	v_pack_b32_f16 v6, v6, v22
	v_fmac_f16_e32 v4, v8, v25
	v_mul_f16_e32 v8, v41, v5
	v_fma_f16 v5, v9, v5, -v7
	s_wait_loadcnt 0x9
	v_lshrrev_b32_e32 v7, 16, v29
	v_mul_f16_e32 v22, v42, v29
	ds_store_2addr_b32 v27, v3, v6 offset0:72 offset1:108
	v_pack_b32_f16 v3, v4, v13
	v_fmac_f16_e32 v8, v9, v26
	v_mul_f16_e32 v4, v42, v7
	s_wait_loadcnt 0x8
	v_lshrrev_b32_e32 v6, 16, v30
	v_mul_f16_e32 v9, v43, v30
	v_fma_f16 v7, v10, v7, -v22
	v_pack_b32_f16 v5, v8, v5
	v_fmac_f16_e32 v4, v10, v29
	v_mul_f16_e32 v8, v43, v6
	v_fma_f16 v6, v11, v6, -v9
	s_wait_loadcnt 0x7
	v_lshrrev_b32_e32 v9, 16, v31
	v_mul_f16_e32 v10, v44, v31
	ds_store_2addr_b32 v27, v3, v5 offset0:144 offset1:180
	v_pack_b32_f16 v3, v4, v7
	v_fmac_f16_e32 v8, v11, v30
	v_mul_f16_e32 v4, v44, v9
	s_wait_loadcnt 0x6
	v_lshrrev_b32_e32 v5, 16, v32
	v_fma_f16 v7, v14, v9, -v10
	v_mul_f16_e32 v9, v45, v32
	v_pack_b32_f16 v6, v8, v6
	v_fmac_f16_e32 v4, v14, v31
	v_mul_f16_e32 v8, v45, v5
	s_wait_loadcnt 0x5
	v_lshrrev_b32_e32 v10, 16, v33
	v_mul_f16_e32 v11, v46, v33
	v_fma_f16 v5, v15, v5, -v9
	v_pack_b32_f16 v4, v4, v7
	v_fmac_f16_e32 v8, v15, v32
	v_mul_f16_e32 v7, v46, v10
	v_fma_f16 v9, v16, v10, -v11
	s_wait_loadcnt 0x4
	v_lshrrev_b32_e32 v10, 16, v34
	v_mul_f16_e32 v11, v47, v34
	v_pack_b32_f16 v5, v8, v5
	v_fmac_f16_e32 v7, v16, v33
	s_wait_loadcnt 0x3
	v_lshrrev_b32_e32 v8, 16, v35
	v_mul_f16_e32 v13, v47, v10
	v_fma_f16 v10, v17, v10, -v11
	v_mul_f16_e32 v11, v49, v35
	s_wait_loadcnt 0x2
	v_lshrrev_b32_e32 v14, 16, v36
	v_pack_b32_f16 v7, v7, v9
	v_mul_f16_e32 v9, v49, v8
	v_fmac_f16_e32 v13, v17, v34
	v_fma_f16 v8, v18, v8, -v11
	v_mul_f16_e32 v11, v50, v36
	s_wait_loadcnt 0x1
	v_lshrrev_b32_e32 v15, 16, v0
	s_wait_loadcnt 0x0
	v_lshrrev_b32_e32 v17, 16, v1
	v_mul_f16_e32 v16, v50, v14
	v_fmac_f16_e32 v9, v18, v35
	v_fma_f16 v11, v19, v14, -v11
	v_mul_f16_e32 v14, v51, v0
	v_mul_f16_e32 v18, v51, v15
	;; [unrolled: 1-line block ×4, first 2 shown]
	v_fmac_f16_e32 v16, v19, v36
	v_fma_f16 v14, v20, v15, -v14
	v_fmac_f16_e32 v18, v20, v0
	v_fma_f16 v0, v21, v17, -v22
	v_fmac_f16_e32 v23, v21, v1
	v_pack_b32_f16 v1, v13, v10
	v_pack_b32_f16 v8, v9, v8
	;; [unrolled: 1-line block ×5, first 2 shown]
	v_add_nc_u32_e32 v11, 0x600, v27
	ds_store_2addr_b32 v27, v3, v6 offset0:216 offset1:252
	ds_store_2addr_b32 v2, v4, v5 offset0:32 offset1:68
	;; [unrolled: 1-line block ×5, first 2 shown]
.LBB0_3:
	s_or_b32 exec_lo, exec_lo, s3
	s_load_b64 s[2:3], s[0:1], 0x20
	global_wb scope:SCOPE_SE
	s_wait_dscnt 0x0
	s_wait_kmcnt 0x0
	s_barrier_signal -1
	s_barrier_wait -1
	global_inv scope:SCOPE_SE
                                        ; implicit-def: $vgpr0
                                        ; implicit-def: $vgpr10
                                        ; implicit-def: $vgpr4
                                        ; implicit-def: $vgpr15
                                        ; implicit-def: $vgpr2
                                        ; implicit-def: $vgpr13
                                        ; implicit-def: $vgpr6
                                        ; implicit-def: $vgpr8
	s_and_saveexec_b32 s4, vcc_lo
	s_cbranch_execz .LBB0_5
; %bb.4:
	v_add_nc_u32_e32 v8, 0x400, v27
	v_add_nc_u32_e32 v9, 0x600, v27
	ds_load_2addr_b32 v[0:1], v27 offset1:36
	ds_load_2addr_b32 v[2:3], v27 offset0:72 offset1:108
	ds_load_2addr_b32 v[4:5], v27 offset0:144 offset1:180
	;; [unrolled: 1-line block ×7, first 2 shown]
.LBB0_5:
	s_wait_alu 0xfffe
	s_or_b32 exec_lo, exec_lo, s4
	s_wait_dscnt 0x1
	v_pk_add_f16 v15, v4, v15 neg_lo:[0,1] neg_hi:[0,1]
	v_pk_add_f16 v17, v0, v10 neg_lo:[0,1] neg_hi:[0,1]
	;; [unrolled: 1-line block ×3, first 2 shown]
	s_wait_dscnt 0x0
	v_pk_add_f16 v8, v6, v8 neg_lo:[0,1] neg_hi:[0,1]
	v_pk_add_f16 v18, v1, v11 neg_lo:[0,1] neg_hi:[0,1]
	v_lshrrev_b32_e32 v10, 16, v15
	v_lshrrev_b32_e32 v11, 16, v17
	;; [unrolled: 1-line block ×3, first 2 shown]
	v_pk_add_f16 v16, v5, v16 neg_lo:[0,1] neg_hi:[0,1]
	v_pk_add_f16 v14, v3, v14 neg_lo:[0,1] neg_hi:[0,1]
	v_sub_f16_e32 v19, v17, v10
	v_lshrrev_b32_e32 v10, 16, v8
	v_add_f16_e32 v22, v15, v11
	v_add_f16_e32 v25, v8, v20
	v_pk_add_f16 v21, v7, v9 neg_lo:[0,1] neg_hi:[0,1]
	v_fma_f16 v23, v17, 2.0, -v19
	v_sub_f16_e32 v24, v13, v10
	v_lshrrev_b32_e32 v9, 16, v16
	v_fma_f16 v29, v11, 2.0, -v22
	v_fma_f16 v20, v20, 2.0, -v25
	v_lshrrev_b32_e32 v26, 16, v18
	v_fma_f16 v11, v13, 2.0, -v24
	v_sub_f16_e32 v30, v18, v9
	v_lshrrev_b32_e32 v32, 16, v21
	v_lshrrev_b32_e32 v33, 16, v14
	v_fmamk_f16 v10, v20, 0xb9a8, v29
	v_fmamk_f16 v9, v11, 0xb9a8, v23
	v_pk_fma_f16 v0, v0, 2.0, v17 op_sel_hi:[1,0,1] neg_lo:[0,0,1] neg_hi:[0,0,1]
	v_pk_fma_f16 v4, v4, 2.0, v15 op_sel_hi:[1,0,1] neg_lo:[0,0,1] neg_hi:[0,0,1]
	;; [unrolled: 1-line block ×4, first 2 shown]
	v_add_f16_e32 v31, v16, v26
	v_sub_f16_e32 v32, v14, v32
	v_add_f16_e32 v35, v21, v33
	v_fmac_f16_e32 v9, 0xb9a8, v20
	v_fmac_f16_e32 v10, 0x39a8, v11
	v_pk_add_f16 v4, v0, v4 neg_lo:[0,1] neg_hi:[0,1]
	v_pk_add_f16 v6, v2, v6 neg_lo:[0,1] neg_hi:[0,1]
	v_fma_f16 v34, v18, 2.0, -v30
	v_fma_f16 v20, v26, 2.0, -v31
	;; [unrolled: 1-line block ×6, first 2 shown]
	v_fmamk_f16 v29, v24, 0x39a8, v19
	v_fmamk_f16 v36, v25, 0x39a8, v22
	v_pk_fma_f16 v8, v1, 2.0, v18 op_sel_hi:[1,0,1] neg_lo:[0,0,1] neg_hi:[0,0,1]
	v_pk_fma_f16 v5, v5, 2.0, v16 op_sel_hi:[1,0,1] neg_lo:[0,0,1] neg_hi:[0,0,1]
	;; [unrolled: 1-line block ×6, first 2 shown]
	v_lshrrev_b32_e32 v15, 16, v4
	v_fmac_f16_e32 v29, 0xb9a8, v25
	v_fmac_f16_e32 v36, 0x39a8, v24
	v_pk_add_f16 v14, v8, v5 neg_lo:[0,1] neg_hi:[0,1]
	v_pk_add_f16 v7, v3, v7 neg_lo:[0,1] neg_hi:[0,1]
	;; [unrolled: 1-line block ×3, first 2 shown]
	v_lshrrev_b32_e32 v5, 16, v6
	v_add_f16_e32 v6, v6, v15
	v_fmamk_f16 v24, v26, 0xb9a8, v34
	v_fmamk_f16 v25, v33, 0xb9a8, v20
	v_pk_fma_f16 v8, v8, 2.0, v14 op_sel_hi:[1,0,1] neg_lo:[0,0,1] neg_hi:[0,0,1]
	v_pk_fma_f16 v16, v3, 2.0, v7 op_sel_hi:[1,0,1] neg_lo:[0,0,1] neg_hi:[0,0,1]
	;; [unrolled: 1-line block ×3, first 2 shown]
	v_sub_f16_e32 v13, v4, v5
	v_fma_f16 v5, v15, 2.0, -v6
	v_fmac_f16_e32 v24, 0xb9a8, v33
	v_fmac_f16_e32 v25, 0x39a8, v26
	v_lshrrev_b32_e32 v15, 16, v7
	v_fmamk_f16 v26, v32, 0x39a8, v30
	v_fmamk_f16 v33, v35, 0x39a8, v31
	v_pk_add_f16 v18, v8, v16 neg_lo:[0,1] neg_hi:[0,1]
	v_lshrrev_b32_e32 v16, 16, v14
	v_fma_f16 v17, v34, 2.0, -v24
	v_sub_f16_e32 v34, v14, v15
	v_fmac_f16_e32 v26, 0xb9a8, v35
	v_fmac_f16_e32 v33, 0x39a8, v32
	v_fma_f16 v2, v22, 2.0, -v36
	v_fma_f16 v4, v4, 2.0, -v13
	v_add_f16_e32 v7, v7, v16
	v_fma_f16 v14, v14, 2.0, -v34
	v_fma_f16 v22, v30, 2.0, -v26
	v_fma_f16 v30, v31, 2.0, -v33
	s_load_b64 s[4:5], s[0:1], 0x8
	v_fma_f16 v1, v19, 2.0, -v29
	v_fma_f16 v15, v20, 2.0, -v25
	;; [unrolled: 1-line block ×3, first 2 shown]
	v_fmamk_f16 v19, v14, 0xb9a8, v4
	v_fmamk_f16 v45, v30, 0xb61f, v2
	;; [unrolled: 1-line block ×6, first 2 shown]
	v_fmac_f16_e32 v19, 0xb9a8, v21
	v_fmac_f16_e32 v45, 0x3b64, v22
	v_fmamk_f16 v21, v34, 0x39a8, v13
	v_fmamk_f16 v49, v7, 0x39a8, v6
	;; [unrolled: 1-line block ×4, first 2 shown]
	v_pk_fma_f16 v8, v8, 2.0, v18 op_sel_hi:[1,0,1] neg_lo:[0,0,1] neg_hi:[0,0,1]
	v_fmac_f16_e32 v16, 0xb61f, v15
	v_fmac_f16_e32 v43, 0x361f, v17
	v_pk_add_f16 v17, v0, v18 op_sel:[0,1] op_sel_hi:[1,0] neg_lo:[0,1] neg_hi:[0,1]
	v_pk_add_f16 v15, v0, v18 op_sel:[0,1] op_sel_hi:[1,0]
	v_fmamk_f16 v18, v24, 0x361f, v9
	v_fmamk_f16 v46, v25, 0x361f, v10
	v_fmac_f16_e32 v21, 0xb9a8, v7
	v_fmac_f16_e32 v49, 0x39a8, v34
	v_fmac_f16_e32 v22, 0xb61f, v33
	v_fmac_f16_e32 v48, 0x361f, v26
	v_pk_add_f16 v8, v3, v8 neg_lo:[0,1] neg_hi:[0,1]
	v_fmac_f16_e32 v47, 0x39a8, v14
	v_fmac_f16_e32 v20, 0xbb64, v30
	;; [unrolled: 1-line block ×4, first 2 shown]
	v_fma_f16 v13, v13, 2.0, -v21
	v_fma_f16 v44, v6, 2.0, -v49
	;; [unrolled: 1-line block ×4, first 2 shown]
	v_lshlrev_b16 v29, 4, v28
	global_wb scope:SCOPE_SE
	s_wait_kmcnt 0x0
	s_barrier_signal -1
	s_barrier_wait -1
	global_inv scope:SCOPE_SE
	s_and_saveexec_b32 s0, vcc_lo
	s_cbranch_execz .LBB0_7
; %bb.6:
	v_fma_f16 v6, v9, 2.0, -v18
	v_fma_f16 v7, v10, 2.0, -v46
	;; [unrolled: 1-line block ×4, first 2 shown]
	v_and_b32_e32 v1, 0xffff, v29
	v_fma_f16 v10, v4, 2.0, -v19
	v_fma_f16 v5, v5, 2.0, -v47
	;; [unrolled: 1-line block ×4, first 2 shown]
	v_bfi_b32 v30, 0xffff, v17, v15
	v_lshlrev_b32_e32 v34, 2, v1
	v_pk_fma_f16 v1, v3, 2.0, v8 op_sel_hi:[1,0,1] neg_lo:[0,0,1] neg_hi:[0,0,1]
	v_pack_b32_f16 v4, v9, v2
	v_pack_b32_f16 v3, v10, v5
	;; [unrolled: 1-line block ×3, first 2 shown]
	v_pk_fma_f16 v23, v0, 2.0, v30 op_sel_hi:[1,0,1] neg_lo:[0,0,1] neg_hi:[0,0,1]
	v_pack_b32_f16 v24, v6, v7
	v_perm_b32 v26, v42, v14, 0x5040100
	v_perm_b32 v25, v44, v13, 0x5040100
	;; [unrolled: 1-line block ×8, first 2 shown]
	ds_store_b128 v34, v[1:4]
	ds_store_b128 v34, v[23:26] offset:16
	ds_store_b128 v34, v[8:11] offset:32
	;; [unrolled: 1-line block ×3, first 2 shown]
.LBB0_7:
	s_wait_alu 0xfffe
	s_or_b32 exec_lo, exec_lo, s0
	v_and_b32_e32 v23, 15, v28
	s_load_b128 s[0:3], s[2:3], 0x0
	global_wb scope:SCOPE_SE
	s_wait_dscnt 0x0
	s_wait_kmcnt 0x0
	s_barrier_signal -1
	s_barrier_wait -1
	v_mad_co_u64_u32 v[4:5], null, v23, 20, s[4:5]
	global_inv scope:SCOPE_SE
	v_add_nc_u32_e32 v50, 0x400, v27
	v_add_nc_u32_e32 v57, 0x200, v27
	v_lshrrev_b32_e32 v24, 4, v28
	s_clause 0x1
	global_load_b128 v[0:3], v[4:5], off
	global_load_b32 v11, v[4:5], off offset:16
	ds_load_2addr_b32 v[4:5], v27 offset1:96
	ds_load_2addr_b32 v[6:7], v57 offset0:64 offset1:160
	ds_load_2addr_b32 v[9:10], v50 offset0:128 offset1:224
	v_mul_u32_u24_e32 v24, 0x60, v24
	global_wb scope:SCOPE_SE
	s_wait_loadcnt_dscnt 0x0
	s_barrier_signal -1
	s_barrier_wait -1
	global_inv scope:SCOPE_SE
	v_or_b32_e32 v25, v24, v23
	v_mad_co_u64_u32 v[23:24], null, v28, 20, s[4:5]
	s_delay_alu instid0(VALU_DEP_2)
	v_lshlrev_b32_e32 v30, 2, v25
	v_lshrrev_b32_e32 v26, 16, v5
	v_lshrrev_b32_e32 v31, 16, v6
	;; [unrolled: 1-line block ×11, first 2 shown]
	v_mul_f16_e32 v36, v5, v41
	v_mul_f16_e32 v51, v31, v40
	;; [unrolled: 1-line block ×10, first 2 shown]
	v_fmac_f16_e32 v36, v26, v0
	v_fma_f16 v6, v6, v1, -v51
	v_fmac_f16_e32 v52, v31, v1
	v_fma_f16 v7, v7, v2, -v53
	v_fmac_f16_e32 v54, v32, v2
	v_fma_f16 v9, v9, v3, -v55
	v_fmac_f16_e32 v56, v33, v3
	v_fma_f16 v10, v10, v11, -v58
	v_fmac_f16_e32 v59, v34, v11
	v_fma_f16 v5, v5, v0, -v35
	v_add_f16_e32 v31, v6, v9
	v_sub_f16_e32 v32, v52, v56
	v_add_f16_e32 v33, v25, v52
	v_add_f16_e32 v34, v52, v56
	;; [unrolled: 1-line block ×3, first 2 shown]
	v_sub_f16_e32 v52, v54, v59
	v_add_f16_e32 v53, v36, v54
	v_add_f16_e32 v54, v54, v59
	;; [unrolled: 1-line block ×3, first 2 shown]
	v_sub_f16_e32 v6, v6, v9
	v_add_f16_e32 v35, v5, v7
	v_sub_f16_e32 v7, v7, v10
	v_fmac_f16_e32 v4, -0.5, v31
	v_fmac_f16_e32 v25, -0.5, v34
	;; [unrolled: 1-line block ×4, first 2 shown]
	v_add_f16_e32 v9, v26, v9
	v_add_f16_e32 v26, v33, v56
	;; [unrolled: 1-line block ×3, first 2 shown]
	v_fmamk_f16 v33, v32, 0x3aee, v4
	v_fmac_f16_e32 v4, 0xbaee, v32
	v_fmamk_f16 v32, v6, 0xbaee, v25
	v_fmac_f16_e32 v25, 0x3aee, v6
	v_fmamk_f16 v6, v52, 0x3aee, v5
	v_fmamk_f16 v34, v7, 0xbaee, v36
	v_fmac_f16_e32 v5, 0xbaee, v52
	v_fmac_f16_e32 v36, 0x3aee, v7
	v_add_f16_e32 v7, v9, v10
	v_sub_f16_e32 v9, v9, v10
	v_mul_f16_e32 v10, 0x3aee, v34
	v_mul_f16_e32 v52, 0xbaee, v6
	v_add_f16_e32 v31, v53, v59
	v_mul_f16_e32 v51, -0.5, v5
	v_mul_f16_e32 v53, -0.5, v36
	v_fmac_f16_e32 v10, 0.5, v6
	v_fmac_f16_e32 v52, 0.5, v34
	v_add_f16_e32 v35, v26, v31
	v_fmac_f16_e32 v51, 0x3aee, v36
	v_fmac_f16_e32 v53, 0xbaee, v5
	v_sub_f16_e32 v26, v26, v31
	v_add_f16_e32 v6, v33, v10
	v_add_f16_e32 v31, v32, v52
	v_pack_b32_f16 v5, v7, v35
	v_add_f16_e32 v7, v4, v51
	v_add_f16_e32 v34, v25, v53
	v_sub_f16_e32 v10, v33, v10
	v_sub_f16_e32 v4, v4, v51
	;; [unrolled: 1-line block ×4, first 2 shown]
	v_pack_b32_f16 v6, v6, v31
	v_pack_b32_f16 v9, v9, v26
	;; [unrolled: 1-line block ×5, first 2 shown]
	ds_store_2addr_b32 v30, v5, v6 offset1:16
	ds_store_2addr_b32 v30, v7, v9 offset0:32 offset1:48
	ds_store_2addr_b32 v30, v10, v4 offset0:64 offset1:80
	global_wb scope:SCOPE_SE
	s_wait_dscnt 0x0
	s_barrier_signal -1
	s_barrier_wait -1
	global_inv scope:SCOPE_SE
	s_clause 0x1
	global_load_b128 v[4:7], v[23:24], off offset:320
	global_load_b32 v31, v[23:24], off offset:336
	ds_load_2addr_b32 v[52:53], v27 offset1:96
	ds_load_2addr_b32 v[9:10], v57 offset0:64 offset1:160
	ds_load_2addr_b32 v[23:24], v50 offset0:128 offset1:224
	s_wait_dscnt 0x2
	v_lshrrev_b32_e32 v25, 16, v53
	s_wait_dscnt 0x1
	v_lshrrev_b32_e32 v51, 16, v10
	;; [unrolled: 2-line block ×3, first 2 shown]
	v_lshrrev_b32_e32 v26, 16, v9
	v_lshrrev_b32_e32 v55, 16, v23
	;; [unrolled: 1-line block ×3, first 2 shown]
	s_wait_loadcnt 0x1
	v_lshrrev_b32_e32 v36, 16, v4
	v_lshrrev_b32_e32 v35, 16, v5
	;; [unrolled: 1-line block ×4, first 2 shown]
	s_wait_loadcnt 0x0
	v_lshrrev_b32_e32 v32, 16, v31
	v_mul_f16_e32 v59, v53, v36
	v_mul_f16_e32 v61, v9, v35
	;; [unrolled: 1-line block ×9, first 2 shown]
	v_fmac_f16_e32 v59, v25, v4
	v_fmac_f16_e32 v61, v26, v5
	v_fma_f16 v10, v10, v6, -v62
	v_fmac_f16_e32 v63, v51, v6
	v_fmac_f16_e32 v65, v55, v7
	v_fma_f16 v24, v24, v31, -v66
	v_fmac_f16_e32 v67, v56, v31
	v_mul_f16_e32 v64, v55, v33
	v_fma_f16 v58, v53, v4, -v58
	v_fma_f16 v9, v9, v5, -v60
	v_sub_f16_e32 v51, v61, v65
	v_add_f16_e32 v53, v54, v61
	v_add_f16_e32 v55, v61, v65
	;; [unrolled: 1-line block ×3, first 2 shown]
	v_sub_f16_e32 v61, v63, v67
	v_add_f16_e32 v62, v59, v63
	v_add_f16_e32 v63, v63, v67
	v_fma_f16 v23, v23, v7, -v64
	v_add_f16_e32 v56, v58, v10
	v_sub_f16_e32 v10, v10, v24
	v_fmac_f16_e32 v58, -0.5, v60
	v_fmac_f16_e32 v59, -0.5, v63
	v_add_f16_e32 v26, v9, v23
	v_fmac_f16_e32 v54, -0.5, v55
	v_add_f16_e32 v24, v56, v24
	v_fmamk_f16 v55, v61, 0x3aee, v58
	v_fmamk_f16 v56, v10, 0xbaee, v59
	v_add_f16_e32 v25, v52, v9
	v_fmac_f16_e32 v58, 0xbaee, v61
	v_fmac_f16_e32 v59, 0x3aee, v10
	v_sub_f16_e32 v9, v9, v23
	v_fmac_f16_e32 v52, -0.5, v26
	v_mul_f16_e32 v61, 0x3aee, v56
	v_mul_f16_e32 v64, 0xbaee, v55
	v_add_f16_e32 v23, v25, v23
	v_add_f16_e32 v25, v53, v65
	v_mul_f16_e32 v63, -0.5, v58
	v_mul_f16_e32 v65, -0.5, v59
	v_add_f16_e32 v26, v62, v67
	v_fmamk_f16 v60, v51, 0x3aee, v52
	v_fmamk_f16 v62, v9, 0xbaee, v54
	v_fmac_f16_e32 v61, 0.5, v55
	v_fmac_f16_e32 v64, 0.5, v56
	v_fmac_f16_e32 v52, 0xbaee, v51
	v_fmac_f16_e32 v54, 0x3aee, v9
	;; [unrolled: 1-line block ×4, first 2 shown]
	v_add_f16_e32 v9, v23, v24
	v_add_f16_e32 v51, v25, v26
	v_add_f16_e32 v10, v60, v61
	v_add_f16_e32 v55, v62, v64
	v_sub_f16_e32 v24, v23, v24
	v_sub_f16_e32 v53, v25, v26
	v_add_f16_e32 v23, v52, v63
	v_add_f16_e32 v56, v54, v65
	v_sub_f16_e32 v25, v60, v61
	v_sub_f16_e32 v26, v52, v63
	;; [unrolled: 1-line block ×4, first 2 shown]
	v_pack_b32_f16 v58, v9, v51
	v_pack_b32_f16 v60, v10, v55
	;; [unrolled: 1-line block ×6, first 2 shown]
	ds_store_2addr_b32 v27, v58, v60 offset1:96
	ds_store_2addr_b32 v57, v61, v59 offset0:64 offset1:160
	ds_store_2addr_b32 v50, v62, v63 offset0:128 offset1:224
	global_wb scope:SCOPE_SE
	s_wait_dscnt 0x0
	s_barrier_signal -1
	s_barrier_wait -1
	global_inv scope:SCOPE_SE
	s_and_saveexec_b32 s6, vcc_lo
	s_cbranch_execz .LBB0_9
; %bb.8:
	s_add_nc_u64 s[4:5], s[20:21], 0x900
	s_clause 0xf
	global_load_b32 v59, v27, s[20:21] offset:2304
	global_load_b32 v60, v27, s[4:5] offset:144
	;; [unrolled: 1-line block ×16, first 2 shown]
	ds_load_2addr_b32 v[57:58], v27 offset1:36
	s_wait_dscnt 0x0
	v_lshrrev_b32_e32 v61, 16, v57
	v_lshrrev_b32_e32 v77, 16, v58
	s_wait_loadcnt 0xf
	v_lshrrev_b32_e32 v62, 16, v59
	s_wait_loadcnt 0xe
	v_lshrrev_b32_e32 v78, 16, v60
	s_delay_alu instid0(VALU_DEP_2) | instskip(SKIP_1) | instid1(VALU_DEP_3)
	v_mul_f16_e32 v79, v61, v62
	v_mul_f16_e32 v62, v57, v62
	;; [unrolled: 1-line block ×4, first 2 shown]
	s_wait_loadcnt 0x9
	v_lshrrev_b32_e32 v81, 16, v67
	v_fma_f16 v57, v57, v59, -v79
	v_fmac_f16_e32 v62, v61, v59
	v_fma_f16 v58, v58, v60, -v80
	v_fmac_f16_e32 v78, v77, v60
	v_lshrrev_b32_e32 v77, 16, v63
	v_lshrrev_b32_e32 v79, 16, v65
	v_pack_b32_f16 v57, v57, v62
	v_lshrrev_b32_e32 v80, 16, v66
	v_pack_b32_f16 v58, v58, v78
	v_lshrrev_b32_e32 v78, 16, v64
	s_wait_loadcnt 0x8
	v_lshrrev_b32_e32 v82, 16, v68
	ds_store_2addr_b32 v27, v57, v58 offset1:36
	ds_load_2addr_b32 v[57:58], v27 offset0:72 offset1:108
	ds_load_2addr_b32 v[59:60], v27 offset0:144 offset1:180
	;; [unrolled: 1-line block ×3, first 2 shown]
	s_wait_dscnt 0x2
	v_lshrrev_b32_e32 v83, 16, v57
	v_lshrrev_b32_e32 v85, 16, v58
	s_wait_dscnt 0x1
	v_lshrrev_b32_e32 v87, 16, v59
	v_lshrrev_b32_e32 v89, 16, v60
	;; [unrolled: 3-line block ×3, first 2 shown]
	v_mul_f16_e32 v84, v57, v77
	v_mul_f16_e32 v86, v58, v78
	;; [unrolled: 1-line block ×12, first 2 shown]
	v_fmac_f16_e32 v84, v83, v63
	v_fmac_f16_e32 v86, v85, v64
	v_fma_f16 v57, v57, v63, -v77
	v_fma_f16 v58, v58, v64, -v78
	v_fmac_f16_e32 v88, v87, v65
	v_fmac_f16_e32 v90, v89, v66
	v_fma_f16 v59, v59, v65, -v79
	v_fma_f16 v60, v60, v66, -v80
	;; [unrolled: 4-line block ×3, first 2 shown]
	v_pack_b32_f16 v57, v57, v84
	v_pack_b32_f16 v58, v58, v86
	;; [unrolled: 1-line block ×6, first 2 shown]
	ds_store_2addr_b32 v27, v57, v58 offset0:72 offset1:108
	ds_store_2addr_b32 v27, v59, v60 offset0:144 offset1:180
	;; [unrolled: 1-line block ×3, first 2 shown]
	ds_load_2addr_b32 v[57:58], v50 offset0:32 offset1:68
	s_wait_loadcnt 0x7
	v_lshrrev_b32_e32 v59, 16, v69
	s_wait_loadcnt 0x6
	v_lshrrev_b32_e32 v60, 16, v70
	;; [unrolled: 2-line block ×6, first 2 shown]
	s_wait_dscnt 0x0
	v_lshrrev_b32_e32 v61, 16, v57
	v_lshrrev_b32_e32 v62, 16, v58
	v_mul_f16_e32 v63, v57, v59
	v_mul_f16_e32 v64, v58, v60
	s_delay_alu instid0(VALU_DEP_4) | instskip(NEXT) | instid1(VALU_DEP_4)
	v_mul_f16_e32 v59, v61, v59
	v_mul_f16_e32 v60, v62, v60
	s_delay_alu instid0(VALU_DEP_4) | instskip(NEXT) | instid1(VALU_DEP_4)
	v_fmac_f16_e32 v63, v61, v69
	v_fmac_f16_e32 v64, v62, v70
	s_delay_alu instid0(VALU_DEP_4) | instskip(NEXT) | instid1(VALU_DEP_4)
	v_fma_f16 v57, v57, v69, -v59
	v_fma_f16 v58, v58, v70, -v60
	s_wait_loadcnt 0x0
	v_lshrrev_b32_e32 v69, 16, v76
	s_delay_alu instid0(VALU_DEP_3) | instskip(NEXT) | instid1(VALU_DEP_3)
	v_pack_b32_f16 v57, v57, v63
	v_pack_b32_f16 v58, v58, v64
	v_add_nc_u32_e32 v63, 0x600, v27
	v_lshrrev_b32_e32 v64, 16, v71
	ds_store_2addr_b32 v50, v57, v58 offset0:32 offset1:68
	ds_load_2addr_b32 v[57:58], v50 offset0:104 offset1:140
	ds_load_2addr_b32 v[59:60], v50 offset0:176 offset1:212
	;; [unrolled: 1-line block ×3, first 2 shown]
	s_wait_dscnt 0x2
	v_lshrrev_b32_e32 v70, 16, v57
	v_lshrrev_b32_e32 v78, 16, v58
	s_wait_dscnt 0x1
	v_lshrrev_b32_e32 v80, 16, v59
	v_lshrrev_b32_e32 v82, 16, v60
	;; [unrolled: 3-line block ×3, first 2 shown]
	v_mul_f16_e32 v77, v57, v64
	v_mul_f16_e32 v79, v58, v65
	;; [unrolled: 1-line block ×12, first 2 shown]
	v_fmac_f16_e32 v77, v70, v71
	v_fmac_f16_e32 v79, v78, v72
	v_fma_f16 v57, v57, v71, -v64
	v_fma_f16 v58, v58, v72, -v65
	v_fmac_f16_e32 v81, v80, v73
	v_fmac_f16_e32 v83, v82, v74
	v_fma_f16 v59, v59, v73, -v66
	v_fma_f16 v60, v60, v74, -v67
	;; [unrolled: 4-line block ×3, first 2 shown]
	v_pack_b32_f16 v57, v57, v77
	v_pack_b32_f16 v58, v58, v79
	;; [unrolled: 1-line block ×6, first 2 shown]
	ds_store_2addr_b32 v50, v57, v58 offset0:104 offset1:140
	ds_store_2addr_b32 v50, v59, v60 offset0:176 offset1:212
	;; [unrolled: 1-line block ×3, first 2 shown]
.LBB0_9:
	s_wait_alu 0xfffe
	s_or_b32 exec_lo, exec_lo, s6
	v_lshrrev_b32_e32 v50, 16, v15
	global_wb scope:SCOPE_SE
	s_wait_dscnt 0x0
	s_barrier_signal -1
	s_barrier_wait -1
	global_inv scope:SCOPE_SE
	s_and_saveexec_b32 s4, vcc_lo
	s_cbranch_execz .LBB0_11
; %bb.10:
	v_add_nc_u32_e32 v8, 0x400, v27
	v_add_nc_u32_e32 v21, 0x600, v27
	ds_load_2addr_b32 v[9:10], v27 offset1:36
	ds_load_2addr_b32 v[23:24], v27 offset0:72 offset1:108
	ds_load_2addr_b32 v[25:26], v27 offset0:144 offset1:180
	;; [unrolled: 1-line block ×7, first 2 shown]
	s_wait_dscnt 0x7
	v_lshrrev_b32_e32 v51, 16, v9
	s_wait_dscnt 0x3
	v_mov_b32_e32 v8, v15
	v_lshrrev_b32_e32 v55, 16, v10
	v_lshrrev_b32_e32 v56, 16, v23
	;; [unrolled: 1-line block ×8, first 2 shown]
	s_wait_dscnt 0x2
	v_lshrrev_b32_e32 v47, 16, v19
	v_lshrrev_b32_e32 v45, 16, v20
	s_wait_dscnt 0x1
	v_lshrrev_b32_e32 v50, 16, v17
	v_lshrrev_b32_e32 v46, 16, v18
	;; [unrolled: 3-line block ×3, first 2 shown]
.LBB0_11:
	s_wait_alu 0xfffe
	s_or_b32 exec_lo, exec_lo, s4
	global_wb scope:SCOPE_SE
	s_barrier_signal -1
	s_barrier_wait -1
	global_inv scope:SCOPE_SE
	s_and_saveexec_b32 s4, vcc_lo
	s_cbranch_execz .LBB0_13
; %bb.12:
	v_sub_f16_e32 v15, v56, v47
	v_sub_f16_e32 v47, v44, v49
	;; [unrolled: 1-line block ×4, first 2 shown]
	v_lshrrev_b32_e32 v8, 16, v8
	v_sub_f16_e32 v19, v23, v19
	v_sub_f16_e32 v45, v53, v45
	;; [unrolled: 1-line block ×9, first 2 shown]
	v_add_f16_e32 v58, v47, v19
	v_sub_f16_e32 v20, v24, v20
	v_sub_f16_e32 v46, v54, v46
	;; [unrolled: 1-line block ×5, first 2 shown]
	v_fma_f16 v56, v56, 2.0, -v15
	v_fma_f16 v44, v44, 2.0, -v47
	v_fma_f16 v9, v9, 2.0, -v50
	v_fma_f16 v17, v25, 2.0, -v17
	v_fma_f16 v47, v53, 2.0, -v45
	v_fma_f16 v42, v42, 2.0, -v48
	v_fma_f16 v10, v10, 2.0, -v16
	v_fma_f16 v18, v26, 2.0, -v18
	v_add_f16_e32 v59, v49, v50
	v_sub_f16_e32 v63, v45, v22
	v_sub_f16_e32 v25, v56, v44
	;; [unrolled: 1-line block ×3, first 2 shown]
	v_fma_f16 v44, v55, 2.0, -v43
	v_fma_f16 v26, v54, 2.0, -v46
	;; [unrolled: 1-line block ×4, first 2 shown]
	v_sub_f16_e32 v22, v47, v42
	v_sub_f16_e32 v18, v10, v18
	v_fma_f16 v51, v51, 2.0, -v8
	v_fma_f16 v49, v52, 2.0, -v49
	;; [unrolled: 1-line block ×4, first 2 shown]
	v_sub_f16_e32 v57, v15, v21
	v_add_f16_e32 v60, v48, v20
	v_add_f16_e32 v61, v46, v16
	v_fmamk_f16 v66, v63, 0x39a8, v64
	v_add_f16_e32 v46, v25, v17
	v_sub_f16_e32 v26, v44, v26
	v_sub_f16_e32 v14, v24, v14
	v_add_f16_e32 v48, v22, v18
	v_sub_f16_e32 v49, v51, v49
	v_fma_f16 v21, v50, 2.0, -v59
	v_fma_f16 v19, v19, 2.0, -v58
	;; [unrolled: 1-line block ×4, first 2 shown]
	v_sub_f16_e32 v13, v23, v13
	v_fmamk_f16 v62, v58, 0x39a8, v59
	v_fmamk_f16 v65, v60, 0x39a8, v61
	v_fmac_f16_e32 v66, 0xb9a8, v60
	v_fmamk_f16 v69, v57, 0x39a8, v67
	v_sub_f16_e32 v53, v26, v14
	v_fmamk_f16 v54, v48, 0x39a8, v46
	v_fma_f16 v15, v15, 2.0, -v57
	v_fma_f16 v20, v20, 2.0, -v60
	;; [unrolled: 1-line block ×4, first 2 shown]
	v_fmamk_f16 v50, v19, 0xb9a8, v21
	v_fmamk_f16 v55, v45, 0xb9a8, v43
	v_sub_f16_e32 v60, v49, v13
	v_fma_f16 v9, v9, 2.0, -v17
	v_fma_f16 v10, v10, 2.0, -v18
	;; [unrolled: 1-line block ×4, first 2 shown]
	v_fmac_f16_e32 v62, 0x39a8, v57
	v_fmac_f16_e32 v65, 0x39a8, v63
	;; [unrolled: 1-line block ×3, first 2 shown]
	v_fmamk_f16 v57, v20, 0xb9a8, v16
	v_fmamk_f16 v58, v15, 0xb9a8, v8
	v_fmac_f16_e32 v50, 0x39a8, v15
	v_fmac_f16_e32 v55, 0xb9a8, v20
	;; [unrolled: 1-line block ×3, first 2 shown]
	v_fmamk_f16 v63, v53, 0x39a8, v60
	v_fma_f16 v13, v23, 2.0, -v13
	v_fma_f16 v15, v44, 2.0, -v26
	v_fma_f16 v20, v47, 2.0, -v22
	v_fma_f16 v51, v51, 2.0, -v49
	v_fma_f16 v25, v56, 2.0, -v25
	v_fma_f16 v14, v24, 2.0, -v14
	v_fma_f16 v26, v26, 2.0, -v53
	v_fmamk_f16 v53, v18, 0xb9a8, v17
	v_fma_f16 v49, v49, 2.0, -v60
	v_fmamk_f16 v68, v65, 0x3b64, v62
	v_fmac_f16_e32 v57, 0x39a8, v45
	v_fmac_f16_e32 v58, 0xb9a8, v19
	v_sub_f16_e32 v13, v9, v13
	v_sub_f16_e32 v20, v15, v20
	;; [unrolled: 1-line block ×4, first 2 shown]
	v_fmac_f16_e32 v53, 0x39a8, v26
	v_fmamk_f16 v26, v26, 0xb9a8, v49
	v_fmac_f16_e32 v68, 0x361f, v66
	v_fmac_f16_e32 v63, 0xb9a8, v48
	v_fma_f16 v22, v46, 2.0, -v54
	v_add_f16_e32 v47, v20, v13
	v_fma_f16 v24, v59, 2.0, -v62
	v_fma_f16 v56, v61, 2.0, -v65
	;; [unrolled: 1-line block ×4, first 2 shown]
	v_sub_f16_e32 v46, v25, v14
	v_fma_f16 v21, v21, 2.0, -v50
	v_fma_f16 v16, v16, 2.0, -v57
	v_fmac_f16_e32 v26, 0xb9a8, v18
	v_fma_f16 v18, v43, 2.0, -v55
	v_fma_f16 v8, v8, 2.0, -v58
	;; [unrolled: 1-line block ×3, first 2 shown]
	v_fmamk_f16 v70, v57, 0x361f, v50
	v_fma_f16 v23, v60, 2.0, -v63
	v_fma_f16 v59, v13, 2.0, -v47
	v_fmamk_f16 v62, v56, 0xb61f, v24
	v_fmamk_f16 v48, v61, 0xb61f, v64
	v_fma_f16 v60, v25, 2.0, -v46
	v_fmamk_f16 v43, v16, 0xbb64, v21
	v_fma_f16 v9, v9, 2.0, -v13
	v_fma_f16 v10, v10, 2.0, -v14
	;; [unrolled: 1-line block ×4, first 2 shown]
	v_fmamk_f16 v25, v18, 0xbb64, v8
	v_fmamk_f16 v42, v66, 0x3b64, v69
	;; [unrolled: 1-line block ×3, first 2 shown]
	v_fmac_f16_e32 v70, 0x3b64, v55
	v_fmac_f16_e32 v62, 0x3b64, v61
	;; [unrolled: 1-line block ×3, first 2 shown]
	v_fma_f16 v15, v49, 2.0, -v26
	v_fmac_f16_e32 v43, 0x361f, v18
	v_sub_f16_e32 v10, v9, v10
	v_sub_f16_e32 v49, v13, v14
	v_fmac_f16_e32 v25, 0xb61f, v16
	v_fmac_f16_e32 v42, 0xb61f, v65
	;; [unrolled: 1-line block ×3, first 2 shown]
	v_fma_f16 v44, v50, 2.0, -v70
	v_fma_f16 v24, v24, 2.0, -v62
	;; [unrolled: 1-line block ×4, first 2 shown]
	v_and_b32_e32 v14, 0xffff, v29
	v_fma_f16 v18, v21, 2.0, -v43
	v_fma_f16 v9, v9, 2.0, -v10
	;; [unrolled: 1-line block ×6, first 2 shown]
	v_lshlrev_b32_e32 v29, 2, v14
	v_pack_b32_f16 v16, v24, v50
	v_pack_b32_f16 v15, v17, v15
	;; [unrolled: 1-line block ×16, first 2 shown]
	ds_store_b128 v29, v[13:16]
	ds_store_b128 v29, v[17:20] offset:16
	ds_store_b128 v29, v[21:24] offset:32
	;; [unrolled: 1-line block ×3, first 2 shown]
.LBB0_13:
	s_wait_alu 0xfffe
	s_or_b32 exec_lo, exec_lo, s4
	global_wb scope:SCOPE_SE
	s_wait_dscnt 0x0
	s_barrier_signal -1
	s_barrier_wait -1
	global_inv scope:SCOPE_SE
	v_add_nc_u32_e32 v9, 0x200, v27
	ds_load_2addr_b32 v[13:14], v27 offset1:96
	v_add_nc_u32_e32 v8, 0x400, v27
	ds_load_2addr_b32 v[15:16], v9 offset0:64 offset1:160
	ds_load_2addr_b32 v[17:18], v8 offset0:128 offset1:224
	global_wb scope:SCOPE_SE
	s_wait_dscnt 0x0
	s_barrier_signal -1
	s_barrier_wait -1
	global_inv scope:SCOPE_SE
	v_lshrrev_b32_e32 v19, 16, v14
	v_mul_f16_e32 v20, v41, v14
	v_lshrrev_b32_e32 v10, 16, v13
	v_lshrrev_b32_e32 v21, 16, v15
	;; [unrolled: 1-line block ×4, first 2 shown]
	v_mul_f16_e32 v25, v41, v19
	v_fma_f16 v19, v0, v19, -v20
	v_mul_f16_e32 v20, v40, v15
	v_mul_f16_e32 v26, v39, v16
	;; [unrolled: 1-line block ×3, first 2 shown]
	v_fmac_f16_e32 v25, v0, v14
	v_mul_f16_e32 v0, v40, v21
	v_fma_f16 v14, v1, v21, -v20
	v_mul_f16_e32 v20, v39, v22
	v_fma_f16 v21, v2, v22, -v26
	v_mul_f16_e32 v22, v38, v23
	v_lshrrev_b32_e32 v24, 16, v18
	v_mul_f16_e32 v41, v37, v18
	v_fma_f16 v23, v3, v23, -v29
	v_fmac_f16_e32 v0, v1, v15
	v_fmac_f16_e32 v22, v3, v17
	v_mul_f16_e32 v26, v37, v24
	v_fma_f16 v24, v11, v24, -v41
	v_fmac_f16_e32 v20, v2, v16
	v_sub_f16_e32 v1, v14, v23
	v_add_f16_e32 v2, v10, v14
	v_add_f16_e32 v3, v14, v23
	;; [unrolled: 1-line block ×3, first 2 shown]
	v_fmac_f16_e32 v26, v11, v18
	v_add_f16_e32 v15, v21, v24
	v_add_f16_e32 v16, v13, v0
	;; [unrolled: 1-line block ×3, first 2 shown]
	v_fmac_f16_e32 v13, -0.5, v14
	v_fmac_f16_e32 v10, -0.5, v3
	v_sub_f16_e32 v0, v0, v22
	v_add_f16_e32 v3, v20, v26
	v_fmac_f16_e32 v19, -0.5, v15
	v_fmamk_f16 v17, v1, 0xbaee, v13
	v_fmac_f16_e32 v13, 0x3aee, v1
	v_sub_f16_e32 v1, v20, v26
	v_add_f16_e32 v14, v16, v22
	v_fmamk_f16 v16, v0, 0x3aee, v10
	v_add_f16_e32 v15, v25, v20
	v_fmac_f16_e32 v25, -0.5, v3
	v_sub_f16_e32 v3, v21, v24
	v_fmac_f16_e32 v10, 0xbaee, v0
	v_fmamk_f16 v0, v1, 0x3aee, v19
	v_fmac_f16_e32 v19, 0xbaee, v1
	v_add_f16_e32 v1, v15, v26
	v_fmamk_f16 v15, v3, 0xbaee, v25
	v_fmac_f16_e32 v25, 0x3aee, v3
	v_mul_f16_e32 v3, 0xbaee, v0
	v_mul_f16_e32 v0, 0.5, v0
	v_mul_f16_e32 v18, 0xbaee, v19
	v_mul_f16_e32 v19, -0.5, v19
	v_add_f16_e32 v2, v2, v23
	v_add_f16_e32 v11, v11, v24
	v_fmac_f16_e32 v3, 0.5, v15
	v_fmac_f16_e32 v0, 0x3aee, v15
	v_fmac_f16_e32 v18, -0.5, v25
	v_fmac_f16_e32 v19, 0x3aee, v25
	v_add_f16_e32 v20, v14, v1
	v_add_f16_e32 v15, v17, v3
	;; [unrolled: 1-line block ×6, first 2 shown]
	v_sub_f16_e32 v1, v14, v1
	v_sub_f16_e32 v2, v2, v11
	;; [unrolled: 1-line block ×6, first 2 shown]
	v_pack_b32_f16 v11, v20, v22
	v_pack_b32_f16 v14, v15, v23
	;; [unrolled: 1-line block ×6, first 2 shown]
	ds_store_2addr_b32 v30, v11, v14 offset1:16
	ds_store_2addr_b32 v30, v15, v1 offset0:32 offset1:48
	ds_store_2addr_b32 v30, v0, v2 offset0:64 offset1:80
	global_wb scope:SCOPE_SE
	s_wait_dscnt 0x0
	s_barrier_signal -1
	s_barrier_wait -1
	global_inv scope:SCOPE_SE
	ds_load_2addr_b32 v[0:1], v27 offset1:96
	ds_load_2addr_b32 v[2:3], v9 offset0:64 offset1:160
	ds_load_2addr_b32 v[10:11], v8 offset0:128 offset1:224
	s_wait_dscnt 0x2
	v_lshrrev_b32_e32 v13, 16, v1
	s_wait_dscnt 0x1
	v_lshrrev_b32_e32 v15, 16, v2
	v_lshrrev_b32_e32 v16, 16, v3
	s_wait_dscnt 0x0
	v_lshrrev_b32_e32 v18, 16, v10
	v_mul_f16_e32 v19, v36, v1
	v_mul_f16_e32 v17, v36, v13
	;; [unrolled: 1-line block ×3, first 2 shown]
	v_lshrrev_b32_e32 v20, 16, v11
	v_lshrrev_b32_e32 v14, 16, v0
	s_delay_alu instid0(VALU_DEP_4)
	v_fmac_f16_e32 v17, v4, v1
	v_mul_f16_e32 v1, v35, v2
	v_fma_f16 v4, v4, v13, -v19
	v_mul_f16_e32 v13, v34, v16
	v_fmac_f16_e32 v21, v5, v2
	v_mul_f16_e32 v2, v33, v18
	v_fma_f16 v1, v5, v15, -v1
	v_mul_f16_e32 v5, v34, v3
	v_fmac_f16_e32 v13, v6, v3
	v_mul_f16_e32 v3, v33, v10
	v_fmac_f16_e32 v2, v7, v10
	v_mul_f16_e32 v10, v32, v20
	v_fma_f16 v5, v6, v16, -v5
	v_mul_f16_e32 v6, v32, v11
	v_fma_f16 v3, v7, v18, -v3
	v_add_f16_e32 v7, v21, v2
	v_fmac_f16_e32 v10, v31, v11
	v_add_f16_e32 v11, v0, v21
	v_fma_f16 v6, v31, v20, -v6
	v_add_f16_e32 v15, v1, v3
	v_fmac_f16_e32 v0, -0.5, v7
	v_sub_f16_e32 v7, v1, v3
	v_add_f16_e32 v1, v14, v1
	v_add_f16_e32 v11, v11, v2
	v_fmac_f16_e32 v14, -0.5, v15
	v_sub_f16_e32 v2, v21, v2
	v_fmamk_f16 v15, v7, 0xbaee, v0
	v_fmac_f16_e32 v0, 0x3aee, v7
	v_add_f16_e32 v7, v5, v6
	v_add_f16_e32 v16, v13, v10
	;; [unrolled: 1-line block ×4, first 2 shown]
	v_fmamk_f16 v3, v2, 0x3aee, v14
	v_fmac_f16_e32 v4, -0.5, v7
	v_sub_f16_e32 v7, v13, v10
	v_add_f16_e32 v13, v17, v13
	v_fmac_f16_e32 v17, -0.5, v16
	v_sub_f16_e32 v5, v5, v6
	v_fmac_f16_e32 v14, 0xbaee, v2
	v_fmamk_f16 v2, v7, 0x3aee, v4
	v_fmac_f16_e32 v4, 0xbaee, v7
	v_add_f16_e32 v7, v13, v10
	v_fmamk_f16 v10, v5, 0xbaee, v17
	v_fmac_f16_e32 v17, 0x3aee, v5
	v_mul_f16_e32 v5, 0xbaee, v2
	v_mul_f16_e32 v2, 0.5, v2
	v_mul_f16_e32 v13, 0xbaee, v4
	v_mul_f16_e32 v4, -0.5, v4
	v_add_f16_e32 v6, v18, v6
	v_fmac_f16_e32 v5, 0.5, v10
	v_fmac_f16_e32 v2, 0x3aee, v10
	v_fmac_f16_e32 v13, -0.5, v17
	v_fmac_f16_e32 v4, 0x3aee, v17
	v_add_f16_e32 v16, v11, v7
	v_add_f16_e32 v10, v15, v5
	;; [unrolled: 1-line block ×6, first 2 shown]
	v_sub_f16_e32 v7, v11, v7
	v_sub_f16_e32 v1, v1, v6
	;; [unrolled: 1-line block ×6, first 2 shown]
	v_pack_b32_f16 v4, v16, v18
	v_pack_b32_f16 v6, v10, v19
	;; [unrolled: 1-line block ×6, first 2 shown]
	ds_store_2addr_b32 v27, v4, v6 offset1:96
	ds_store_2addr_b32 v9, v10, v1 offset0:64 offset1:160
	ds_store_2addr_b32 v8, v2, v0 offset0:128 offset1:224
	global_wb scope:SCOPE_SE
	s_wait_dscnt 0x0
	s_barrier_signal -1
	s_barrier_wait -1
	global_inv scope:SCOPE_SE
	s_and_b32 exec_lo, exec_lo, vcc_lo
	s_cbranch_execz .LBB0_15
; %bb.14:
	s_clause 0x6
	global_load_b32 v2, v27, s[20:21]
	global_load_b32 v3, v27, s[20:21] offset:144
	global_load_b32 v11, v27, s[20:21] offset:288
	global_load_b32 v14, v27, s[20:21] offset:432
	global_load_b32 v15, v27, s[20:21] offset:576
	global_load_b32 v16, v27, s[20:21] offset:720
	global_load_b32 v17, v27, s[20:21] offset:864
	ds_load_b32 v26, v27
	ds_load_2addr_b32 v[20:21], v27 offset0:36 offset1:72
	ds_load_2addr_b32 v[24:25], v27 offset0:108 offset1:144
	v_mad_co_u64_u32 v[18:19], null, s2, v12, 0
	v_mad_co_u64_u32 v[22:23], null, s0, v28, 0
	ds_load_2addr_b32 v[0:1], v27 offset0:180 offset1:216
	s_mov_b32 s24, 0x1c71c71c
	s_mov_b32 s25, 0x3f5c71c7
	s_mul_u64 s[22:23], s[0:1], 0x90
	ds_load_b32 v6, v27 offset:1152
	s_clause 0x4
	global_load_b32 v13, v27, s[20:21] offset:1008
	global_load_b32 v7, v27, s[20:21] offset:1152
	;; [unrolled: 1-line block ×5, first 2 shown]
	s_wait_dscnt 0x3
	v_mad_co_u64_u32 v[29:30], null, s3, v12, v[19:20]
	s_wait_dscnt 0x2
	v_mad_co_u64_u32 v[30:31], null, s1, v28, v[23:24]
	v_lshrrev_b32_e32 v12, 16, v26
	v_lshrrev_b32_e32 v31, 16, v20
	;; [unrolled: 1-line block ×4, first 2 shown]
	v_mov_b32_e32 v19, v29
	v_lshrrev_b32_e32 v34, 16, v25
	v_mov_b32_e32 v23, v30
	s_wait_dscnt 0x1
	v_lshrrev_b32_e32 v35, 16, v0
	v_lshrrev_b32_e32 v42, 16, v1
	s_wait_loadcnt 0xb
	v_lshrrev_b32_e32 v28, 16, v2
	s_wait_loadcnt 0xa
	;; [unrolled: 2-line block ×5, first 2 shown]
	v_lshrrev_b32_e32 v38, 16, v15
	v_mul_f16_e32 v30, v12, v28
	v_mul_f16_e32 v40, v31, v29
	v_mul_f16_e32 v41, v20, v29
	v_mul_f16_e32 v43, v32, v36
	s_wait_loadcnt 0x6
	v_lshrrev_b32_e32 v39, 16, v16
	v_fmac_f16_e32 v30, v26, v2
	v_mul_f16_e32 v26, v26, v28
	v_fmac_f16_e32 v40, v20, v3
	v_fma_f16 v20, v3, v31, -v41
	v_fmac_f16_e32 v43, v21, v11
	v_cvt_f32_f16_e32 v28, v30
	v_fma_f16 v2, v2, v12, -v26
	v_cvt_f32_f16_e32 v31, v40
	v_mul_f16_e32 v12, v21, v36
	v_mul_f16_e32 v26, v33, v37
	v_cvt_f64_f32_e32 v[28:29], v28
	v_cvt_f32_f16_e32 v2, v2
	v_mul_f16_e32 v30, v24, v37
	v_mul_f16_e32 v36, v34, v38
	v_mul_f16_e32 v37, v25, v38
	v_cvt_f32_f16_e32 v38, v20
	v_cvt_f64_f32_e32 v[2:3], v2
	v_cvt_f64_f32_e32 v[20:21], v31
	v_fma_f16 v31, v11, v32, -v12
	v_cvt_f32_f16_e32 v32, v43
	v_cvt_f64_f32_e32 v[11:12], v38
	v_fmac_f16_e32 v26, v24, v14
	v_fma_f16 v14, v14, v33, -v30
	v_cvt_f32_f16_e32 v24, v31
	v_cvt_f64_f32_e32 v[30:31], v32
	v_mul_f16_e32 v40, v35, v39
	v_fmac_f16_e32 v36, v25, v15
	v_cvt_f32_f16_e32 v26, v26
	v_cvt_f64_f32_e32 v[24:25], v24
	v_mul_f16_e32 v38, v0, v39
	v_fma_f16 v32, v15, v34, -v37
	v_fmac_f16_e32 v40, v0, v16
	v_cvt_f32_f16_e32 v0, v14
	v_cvt_f64_f32_e32 v[14:15], v26
	v_cvt_f32_f16_e32 v26, v36
	v_cvt_f32_f16_e32 v36, v32
	v_fma_f16 v16, v16, v35, -v38
	v_cvt_f64_f32_e32 v[32:33], v0
	v_cvt_f32_f16_e32 v0, v40
	v_cvt_f64_f32_e32 v[34:35], v26
	v_cvt_f64_f32_e32 v[36:37], v36
	v_cvt_f32_f16_e32 v16, v16
	s_wait_loadcnt 0x5
	v_lshrrev_b32_e32 v26, 16, v17
	v_cvt_f64_f32_e32 v[38:39], v0
	s_delay_alu instid0(VALU_DEP_3) | instskip(NEXT) | instid1(VALU_DEP_3)
	v_cvt_f64_f32_e32 v[40:41], v16
	v_mul_f16_e32 v43, v42, v26
	v_mul_f64_e32 v[28:29], s[24:25], v[28:29]
	s_delay_alu instid0(VALU_DEP_2)
	v_fmac_f16_e32 v43, v1, v17
	v_mul_f64_e32 v[2:3], s[24:25], v[2:3]
	v_mul_f64_e32 v[20:21], s[24:25], v[20:21]
	;; [unrolled: 1-line block ×9, first 2 shown]
	v_bfe_u32 v46, v29, 20, 11
	s_delay_alu instid0(VALU_DEP_1)
	v_sub_nc_u32_e32 v67, 0x3f1, v46
	v_bfe_u32 v48, v3, 20, 11
	v_add_nc_u32_e32 v46, 0xfffffc10, v46
	v_lshlrev_b64_e32 v[18:19], 2, v[18:19]
	v_and_or_b32 v2, 0x1ff, v3, v2
	v_and_or_b32 v20, 0x1ff, v21, v20
	v_sub_nc_u32_e32 v68, 0x3f1, v48
	v_add_nc_u32_e32 v48, 0xfffffc10, v48
	v_lshlrev_b64_e32 v[22:23], 2, v[22:23]
	v_add_co_u32 v0, vcc_lo, s8, v18
	v_add_co_ci_u32_e32 v16, vcc_lo, s9, v19, vcc_lo
	v_and_or_b32 v11, 0x1ff, v12, v11
	s_delay_alu instid0(VALU_DEP_3) | instskip(SKIP_3) | instid1(VALU_DEP_3)
	v_add_co_u32 v18, vcc_lo, v0, v22
	v_mul_f16_e32 v0, v1, v26
	s_wait_alu 0xfffd
	v_add_co_ci_u32_e32 v19, vcc_lo, v16, v23, vcc_lo
	v_add_co_u32 v22, vcc_lo, v18, s22
	s_delay_alu instid0(VALU_DEP_3)
	v_fma_f16 v26, v17, v42, -v0
	v_mul_f64_e32 v[0:1], s[24:25], v[24:25]
	s_wait_alu 0xfffd
	v_add_co_ci_u32_e32 v23, vcc_lo, s23, v19, vcc_lo
	v_add_co_u32 v16, vcc_lo, v22, s22
	v_cvt_f32_f16_e32 v26, v26
	v_mul_f64_e32 v[24:25], s[24:25], v[32:33]
	s_wait_alu 0xfffd
	v_add_co_ci_u32_e32 v17, vcc_lo, s23, v23, vcc_lo
	v_add_co_u32 v32, vcc_lo, v16, s22
	v_cvt_f64_f32_e32 v[44:45], v26
	v_and_or_b32 v26, 0x1ff, v29, v28
	s_wait_alu 0xfffd
	v_add_co_ci_u32_e32 v33, vcc_lo, s23, v17, vcc_lo
	v_and_or_b32 v30, 0x1ff, v31, v30
	v_and_or_b32 v14, 0x1ff, v15, v14
	v_cmp_ne_u32_e32 vcc_lo, 0, v26
	v_and_or_b32 v34, 0x1ff, v35, v34
	v_and_or_b32 v36, 0x1ff, v37, v36
	v_lshrrev_b32_e32 v28, 8, v29
	v_and_or_b32 v38, 0x1ff, v39, v38
	s_wait_alu 0xfffd
	v_cndmask_b32_e64 v26, 0, 1, vcc_lo
	v_cmp_ne_u32_e32 vcc_lo, 0, v2
	v_lshrrev_b32_e32 v47, 8, v3
	v_lshrrev_b32_e32 v49, 8, v21
	v_bfe_u32 v50, v21, 20, 11
	v_and_or_b32 v26, 0xffe, v28, v26
	s_wait_alu 0xfffd
	v_cndmask_b32_e64 v2, 0, 1, vcc_lo
	v_cmp_ne_u32_e32 vcc_lo, 0, v20
	v_bfe_u32 v52, v12, 20, 11
	v_lshrrev_b32_e32 v51, 8, v12
	v_bfe_u32 v54, v31, 20, 11
	v_and_or_b32 v2, 0xffe, v47, v2
	s_wait_alu 0xfffd
	v_cndmask_b32_e64 v20, 0, 1, vcc_lo
	v_cmp_ne_u32_e32 vcc_lo, 0, v11
	v_sub_nc_u32_e32 v69, 0x3f1, v50
	v_sub_nc_u32_e32 v70, 0x3f1, v52
	v_and_or_b32 v0, 0x1ff, v1, v0
	v_bfe_u32 v56, v1, 20, 11
	s_wait_alu 0xfffd
	v_cndmask_b32_e64 v11, 0, 1, vcc_lo
	v_cmp_ne_u32_e32 vcc_lo, 0, v30
	v_med3_i32 v28, v67, 0, 13
	v_med3_i32 v47, v68, 0, 13
	v_and_or_b32 v24, 0x1ff, v25, v24
	v_and_or_b32 v20, 0xffe, v49, v20
	s_wait_alu 0xfffd
	v_cndmask_b32_e64 v30, 0, 1, vcc_lo
	v_cmp_ne_u32_e32 vcc_lo, 0, v0
	v_or_b32_e32 v67, 0x1000, v26
	v_lshl_or_b32 v68, v46, 12, v26
	v_lshrrev_b32_e32 v53, 8, v31
	v_lshrrev_b32_e32 v55, 8, v1
	s_wait_alu 0xfffd
	v_cndmask_b32_e64 v0, 0, 1, vcc_lo
	v_cmp_ne_u32_e32 vcc_lo, 0, v14
	v_bfe_u32 v58, v15, 20, 11
	v_bfe_u32 v60, v25, 20, 11
	v_add_nc_u32_e32 v50, 0xfffffc10, v50
	v_sub_nc_u32_e32 v71, 0x3f1, v54
	s_wait_alu 0xfffd
	v_cndmask_b32_e64 v14, 0, 1, vcc_lo
	v_cmp_ne_u32_e32 vcc_lo, 0, v24
	v_sub_nc_u32_e32 v72, 0x3f1, v56
	v_med3_i32 v49, v69, 0, 13
	v_and_or_b32 v11, 0xffe, v51, v11
	v_med3_i32 v51, v70, 0, 13
	s_wait_alu 0xfffd
	v_cndmask_b32_e64 v24, 0, 1, vcc_lo
	v_cmp_ne_u32_e32 vcc_lo, 0, v34
	v_or_b32_e32 v69, 0x1000, v2
	v_lshl_or_b32 v70, v48, 12, v2
	v_lshrrev_b32_e32 v57, 8, v15
	v_lshrrev_b32_e32 v59, 8, v25
	s_wait_alu 0xfffd
	v_cndmask_b32_e64 v34, 0, 1, vcc_lo
	v_cmp_ne_u32_e32 vcc_lo, 0, v36
	v_bfe_u32 v62, v35, 20, 11
	v_bfe_u32 v64, v37, 20, 11
	v_add_nc_u32_e32 v52, 0xfffffc10, v52
	v_sub_nc_u32_e32 v73, 0x3f1, v58
	s_wait_alu 0xfffd
	v_cndmask_b32_e64 v36, 0, 1, vcc_lo
	v_cmp_ne_u32_e32 vcc_lo, 0, v38
	v_sub_nc_u32_e32 v74, 0x3f1, v60
	v_and_or_b32 v30, 0xffe, v53, v30
	v_med3_i32 v53, v71, 0, 13
	v_and_or_b32 v0, 0xffe, v55, v0
	s_wait_alu 0xfffd
	v_cndmask_b32_e64 v38, 0, 1, vcc_lo
	v_cmp_ne_u32_e32 vcc_lo, 0, v26
	v_med3_i32 v55, v72, 0, 13
	v_or_b32_e32 v71, 0x1000, v20
	v_lshl_or_b32 v72, v50, 12, v20
	v_lshrrev_b32_e32 v61, 8, v35
	s_wait_alu 0xfffd
	v_cndmask_b32_e64 v26, 0, 1, vcc_lo
	v_cmp_ne_u32_e32 vcc_lo, 0, v2
	v_lshrrev_b32_e32 v63, 8, v37
	v_bfe_u32 v66, v39, 20, 11
	v_add_nc_u32_e32 v54, 0xfffffc10, v54
	v_sub_nc_u32_e32 v75, 0x3f1, v62
	s_wait_alu 0xfffd
	v_cndmask_b32_e64 v2, 0, 1, vcc_lo
	v_cmp_ne_u32_e32 vcc_lo, 0, v20
	v_sub_nc_u32_e32 v76, 0x3f1, v64
	v_and_or_b32 v14, 0xffe, v57, v14
	v_med3_i32 v57, v73, 0, 13
	v_and_or_b32 v24, 0xffe, v59, v24
	s_wait_alu 0xfffd
	v_cndmask_b32_e64 v20, 0, 1, vcc_lo
	v_cmp_ne_u32_e32 vcc_lo, 0, v11
	v_med3_i32 v59, v74, 0, 13
	v_or_b32_e32 v73, 0x1000, v11
	v_lshl_or_b32 v74, v52, 12, v11
	v_lshrrev_b32_e32 v65, 8, v39
	s_wait_alu 0xfffd
	v_cndmask_b32_e64 v11, 0, 1, vcc_lo
	v_cmp_ne_u32_e32 vcc_lo, 0, v30
	v_add_nc_u32_e32 v56, 0xfffffc10, v56
	v_sub_nc_u32_e32 v77, 0x3f1, v66
	v_and_or_b32 v34, 0xffe, v61, v34
	v_med3_i32 v61, v75, 0, 13
	v_and_or_b32 v36, 0xffe, v63, v36
	v_med3_i32 v63, v76, 0, 13
	v_or_b32_e32 v75, 0x1000, v30
	v_lshl_or_b32 v76, v54, 12, v30
	s_wait_alu 0xfffd
	v_cndmask_b32_e64 v30, 0, 1, vcc_lo
	v_cmp_ne_u32_e32 vcc_lo, 0, v0
	v_add_nc_u32_e32 v58, 0xfffffc10, v58
	v_and_or_b32 v38, 0xffe, v65, v38
	v_med3_i32 v65, v77, 0, 13
	v_or_b32_e32 v77, 0x1000, v0
	v_lshl_or_b32 v78, v56, 12, v0
	s_wait_alu 0xfffd
	v_cndmask_b32_e64 v0, 0, 1, vcc_lo
	v_cmp_ne_u32_e32 vcc_lo, 0, v14
	v_add_nc_u32_e32 v60, 0xfffffc10, v60
	v_or_b32_e32 v79, 0x1000, v14
	v_lshl_or_b32 v80, v58, 12, v14
	v_add_nc_u32_e32 v62, 0xfffffc10, v62
	s_wait_alu 0xfffd
	v_cndmask_b32_e64 v14, 0, 1, vcc_lo
	v_cmp_ne_u32_e32 vcc_lo, 0, v24
	v_or_b32_e32 v81, 0x1000, v24
	v_lshl_or_b32 v82, v60, 12, v24
	v_lshrrev_b32_e32 v85, v49, v71
	v_add_nc_u32_e32 v64, 0xfffffc10, v64
	s_wait_alu 0xfffd
	v_cndmask_b32_e64 v24, 0, 1, vcc_lo
	v_cmp_ne_u32_e32 vcc_lo, 0, v34
	v_or_b32_e32 v83, 0x1000, v34
	v_lshl_or_b32 v84, v62, 12, v34
	v_lshrrev_b32_e32 v88, v53, v75
	v_lshrrev_b32_e32 v89, v57, v79
	s_wait_alu 0xfffd
	v_cndmask_b32_e64 v34, 0, 1, vcc_lo
	v_cmp_ne_u32_e32 vcc_lo, 0, v36
	v_lshl_or_b32 v2, v2, 9, 0x7c00
	v_lshlrev_b32_e32 v49, v49, v85
	v_or_b32_e32 v86, 0x1000, v36
	v_lshl_or_b32 v87, v64, 12, v36
	s_wait_alu 0xfffd
	v_cndmask_b32_e64 v36, 0, 1, vcc_lo
	v_lshlrev_b32_e32 v53, v53, v88
	v_cmp_ne_u32_e32 vcc_lo, v49, v71
	v_lshrrev_b32_e32 v71, v28, v67
	v_lshl_or_b32 v0, v0, 9, 0x7c00
	v_lshlrev_b32_e32 v57, v57, v89
	v_cmp_ne_u32_e64 s0, v53, v75
	v_lshrrev_b32_e32 v53, v47, v69
	v_lshrrev_b32_e32 v75, v61, v83
	v_lshlrev_b32_e32 v28, v28, v71
	v_cmp_ne_u32_e64 s1, v57, v79
	v_lshrrev_b32_e32 v57, v51, v73
	v_lshl_or_b32 v26, v26, 9, 0x7c00
	v_lshl_or_b32 v20, v20, 9, 0x7c00
	v_lshrrev_b32_e32 v79, v55, v77
	v_lshl_or_b32 v24, v24, 9, 0x7c00
	v_lshlrev_b32_e32 v61, v61, v75
	v_cmp_ne_u32_e64 s3, v28, v67
	v_lshlrev_b32_e32 v47, v47, v53
	v_lshlrev_b32_e32 v51, v51, v57
	v_lshl_or_b32 v30, v30, 9, 0x7c00
	v_cmp_ne_u32_e64 s2, v61, v83
	v_lshrrev_b32_e32 v61, v59, v81
	v_lshlrev_b32_e32 v55, v55, v79
	s_wait_alu 0xf1ff
	v_cndmask_b32_e64 v67, 0, 1, s3
	v_cmp_ne_u32_e64 s3, v47, v69
	s_wait_alu 0xfffd
	v_cndmask_b32_e64 v69, 0, 1, vcc_lo
	v_cmp_ne_u32_e32 vcc_lo, v51, v73
	v_or_b32_e32 v49, 0x1000, v38
	v_lshl_or_b32 v14, v14, 9, 0x7c00
	v_lshrrev_b32_e32 v83, v63, v86
	v_lshlrev_b32_e32 v59, v59, v61
	s_wait_alu 0xfffd
	v_cndmask_b32_e64 v51, 0, 1, vcc_lo
	v_cmp_ne_u32_e32 vcc_lo, v55, v77
	v_lshl_or_b32 v34, v34, 9, 0x7c00
	v_lshrrev_b32_e32 v28, v65, v49
	v_lshlrev_b32_e32 v63, v63, v83
	s_wait_alu 0xf1ff
	v_cndmask_b32_e64 v47, 0, 1, s3
	s_wait_alu 0xfffd
	v_cndmask_b32_e64 v55, 0, 1, vcc_lo
	v_cmp_ne_u32_e32 vcc_lo, v59, v81
	v_lshlrev_b32_e32 v65, v65, v28
	v_cndmask_b32_e64 v73, 0, 1, s0
	v_or_b32_e32 v47, v53, v47
	v_or_b32_e32 v53, v85, v69
	s_wait_alu 0xfffd
	v_cndmask_b32_e64 v59, 0, 1, vcc_lo
	v_cmp_ne_u32_e32 vcc_lo, v63, v86
	v_or_b32_e32 v51, v57, v51
	v_or_b32_e32 v57, v88, v73
	v_cndmask_b32_e64 v77, 0, 1, s1
	v_or_b32_e32 v55, v79, v55
	s_wait_alu 0xfffd
	v_cndmask_b32_e64 v63, 0, 1, vcc_lo
	v_cmp_ne_u32_e32 vcc_lo, v65, v49
	v_or_b32_e32 v65, v71, v67
	v_or_b32_e32 v67, v89, v77
	v_cndmask_b32_e64 v81, 0, 1, s2
	v_or_b32_e32 v59, v61, v59
	s_wait_alu 0xfffd
	v_cndmask_b32_e64 v49, 0, 1, vcc_lo
	v_cmp_gt_i32_e32 vcc_lo, 1, v46
	v_lshl_or_b32 v36, v36, 9, 0x7c00
	v_or_b32_e32 v61, v75, v81
	v_or_b32_e32 v63, v83, v63
	;; [unrolled: 1-line block ×3, first 2 shown]
	s_wait_alu 0xfffd
	v_cndmask_b32_e32 v49, v68, v65, vcc_lo
	v_cmp_gt_i32_e32 vcc_lo, 1, v48
	v_lshl_or_b32 v11, v11, 9, 0x7c00
	v_cvt_f32_f16_e32 v42, v43
	v_lshrrev_b32_e32 v29, 16, v29
	v_lshrrev_b32_e32 v3, 16, v3
	s_wait_alu 0xfffd
	v_cndmask_b32_e32 v47, v70, v47, vcc_lo
	v_cmp_gt_i32_e32 vcc_lo, 1, v50
	v_cvt_f64_f32_e32 v[42:43], v42
	v_lshrrev_b32_e32 v21, 16, v21
	v_lshrrev_b32_e32 v12, 16, v12
	s_wait_alu 0xfffd
	v_dual_cndmask_b32 v53, v72, v53 :: v_dual_and_b32 v68, 7, v47
	v_cmp_gt_i32_e32 vcc_lo, 1, v52
	v_lshrrev_b32_e32 v47, 2, v47
	v_lshrrev_b32_e32 v31, 16, v31
	s_delay_alu instid0(VALU_DEP_4)
	v_cmp_lt_i32_e64 s1, 5, v68
	v_and_b32_e32 v69, 7, v53
	s_wait_alu 0xfffd
	v_cndmask_b32_e32 v51, v74, v51, vcc_lo
	v_cmp_gt_i32_e32 vcc_lo, 1, v54
	v_cmp_eq_u32_e64 s2, 3, v68
	v_lshrrev_b32_e32 v53, 2, v53
	v_cmp_lt_i32_e64 s3, 5, v69
	s_wait_alu 0xfffd
	v_dual_cndmask_b32 v57, v76, v57 :: v_dual_and_b32 v70, 7, v51
	v_cmp_gt_i32_e32 vcc_lo, 1, v56
	v_cmp_eq_u32_e64 s4, 3, v69
	v_lshrrev_b32_e32 v51, 2, v51
	s_delay_alu instid0(VALU_DEP_4)
	v_cmp_lt_i32_e64 s5, 5, v70
	v_and_b32_e32 v71, 7, v57
	s_wait_alu 0xfffd
	v_cndmask_b32_e32 v55, v78, v55, vcc_lo
	v_cmp_gt_i32_e32 vcc_lo, 1, v58
	v_cmp_eq_u32_e64 s6, 3, v70
	v_lshrrev_b32_e32 v57, 2, v57
	v_cmp_lt_i32_e64 s7, 5, v71
	v_and_b32_e32 v72, 7, v55
	s_wait_alu 0xfffd
	v_cndmask_b32_e32 v65, v80, v67, vcc_lo
	v_cmp_gt_i32_e32 vcc_lo, 1, v60
	v_and_b32_e32 v67, 7, v49
	v_lshrrev_b32_e32 v49, 2, v49
	v_cmp_eq_u32_e64 s8, 3, v71
	v_and_b32_e32 v73, 7, v65
	s_wait_alu 0xfffd
	v_cndmask_b32_e32 v59, v82, v59, vcc_lo
	v_cmp_gt_i32_e32 vcc_lo, 1, v62
	v_add_nc_u32_e32 v66, 0xfffffc10, v66
	v_cmp_eq_u32_e64 s0, 3, v67
	v_cmp_lt_i32_e64 s9, 5, v72
	v_cmp_eq_u32_e64 s10, 3, v72
	s_wait_alu 0xfffd
	v_cndmask_b32_e32 v61, v84, v61, vcc_lo
	v_cmp_gt_i32_e32 vcc_lo, 1, v64
	v_and_b32_e32 v74, 7, v59
	v_lshrrev_b32_e32 v55, 2, v55
	v_cmp_lt_i32_e64 s11, 5, v73
	v_cmp_eq_u32_e64 s12, 3, v73
	s_wait_alu 0xfffd
	v_cndmask_b32_e32 v63, v87, v63, vcc_lo
	v_cmp_lt_i32_e32 vcc_lo, 5, v67
	v_and_b32_e32 v75, 7, v61
	v_lshrrev_b32_e32 v65, 2, v65
	v_cmp_lt_i32_e64 s13, 5, v74
	v_cmp_eq_u32_e64 s14, 3, v74
	s_or_b32 vcc_lo, s0, vcc_lo
	v_and_b32_e32 v76, 7, v63
	s_wait_alu 0xfffe
	v_add_co_ci_u32_e32 v49, vcc_lo, 0, v49, vcc_lo
	s_or_b32 vcc_lo, s2, s1
	v_lshrrev_b32_e32 v59, 2, v59
	s_wait_alu 0xfffe
	v_add_co_ci_u32_e32 v47, vcc_lo, 0, v47, vcc_lo
	s_or_b32 vcc_lo, s4, s3
	v_cmp_lt_i32_e64 s15, 5, v75
	s_wait_alu 0xfffe
	v_add_co_ci_u32_e32 v53, vcc_lo, 0, v53, vcc_lo
	s_or_b32 vcc_lo, s6, s5
	v_cmp_eq_u32_e64 s16, 3, v75
	s_wait_alu 0xfffe
	v_add_co_ci_u32_e32 v51, vcc_lo, 0, v51, vcc_lo
	s_or_b32 vcc_lo, s8, s7
	v_lshrrev_b32_e32 v61, 2, v61
	s_wait_alu 0xfffe
	v_add_co_ci_u32_e32 v57, vcc_lo, 0, v57, vcc_lo
	s_or_b32 vcc_lo, s10, s9
	v_cmp_lt_i32_e64 s17, 5, v76
	s_wait_alu 0xfffe
	v_add_co_ci_u32_e32 v55, vcc_lo, 0, v55, vcc_lo
	s_or_b32 vcc_lo, s12, s11
	v_cmp_eq_u32_e64 s18, 3, v76
	s_wait_alu 0xfffe
	v_add_co_ci_u32_e32 v65, vcc_lo, 0, v65, vcc_lo
	s_or_b32 vcc_lo, s14, s13
	v_lshrrev_b32_e32 v63, 2, v63
	s_wait_alu 0xfffe
	v_add_co_ci_u32_e32 v59, vcc_lo, 0, v59, vcc_lo
	s_or_b32 vcc_lo, s16, s15
	v_lshrrev_b32_e32 v1, 16, v1
	s_wait_alu 0xfffe
	v_add_co_ci_u32_e32 v61, vcc_lo, 0, v61, vcc_lo
	s_or_b32 vcc_lo, s18, s17
	v_lshrrev_b32_e32 v15, 16, v15
	s_wait_alu 0xfffe
	v_add_co_ci_u32_e32 v63, vcc_lo, 0, v63, vcc_lo
	v_cmp_gt_i32_e32 vcc_lo, 31, v46
	v_lshrrev_b32_e32 v25, 16, v25
	v_and_or_b32 v40, 0x1ff, v41, v40
	v_lshrrev_b32_e32 v35, 16, v35
	v_lshrrev_b32_e32 v37, 16, v37
	s_wait_alu 0xfffd
	v_cndmask_b32_e32 v49, 0x7c00, v49, vcc_lo
	v_cmp_gt_i32_e32 vcc_lo, 31, v48
	s_wait_alu 0xfffd
	v_cndmask_b32_e32 v47, 0x7c00, v47, vcc_lo
	v_cmp_gt_i32_e32 vcc_lo, 31, v50
	;; [unrolled: 3-line block ×9, first 2 shown]
	s_wait_alu 0xfffd
	v_cndmask_b32_e32 v63, 0x7c00, v63, vcc_lo
	v_cmp_eq_u32_e32 vcc_lo, 0x40f, v46
	s_wait_alu 0xfffd
	v_cndmask_b32_e32 v26, v49, v26, vcc_lo
	v_cmp_eq_u32_e32 vcc_lo, 0x40f, v48
	s_delay_alu instid0(VALU_DEP_2) | instskip(SKIP_3) | instid1(VALU_DEP_2)
	v_and_or_b32 v26, 0x8000, v29, v26
	s_wait_alu 0xfffd
	v_cndmask_b32_e32 v2, v47, v2, vcc_lo
	v_cmp_eq_u32_e32 vcc_lo, 0x40f, v50
	v_and_or_b32 v2, 0x8000, v3, v2
	s_wait_alu 0xfffd
	v_cndmask_b32_e32 v20, v53, v20, vcc_lo
	v_cmp_eq_u32_e32 vcc_lo, 0x40f, v52
	s_delay_alu instid0(VALU_DEP_2)
	v_and_or_b32 v3, 0x8000, v21, v20
	s_wait_alu 0xfffd
	v_cndmask_b32_e32 v11, v51, v11, vcc_lo
	v_cmp_eq_u32_e32 vcc_lo, 0x40f, v54
	s_wait_loadcnt 0x4
	v_lshrrev_b32_e32 v21, 16, v13
	v_and_b32_e32 v3, 0xffff, v3
	v_and_or_b32 v11, 0x8000, v12, v11
	s_wait_alu 0xfffd
	v_cndmask_b32_e32 v30, v57, v30, vcc_lo
	v_cmp_eq_u32_e32 vcc_lo, 0x40f, v56
	s_delay_alu instid0(VALU_DEP_3) | instskip(NEXT) | instid1(VALU_DEP_3)
	v_lshl_or_b32 v3, v11, 16, v3
	v_and_or_b32 v12, 0x8000, v31, v30
	s_wait_alu 0xfffd
	v_cndmask_b32_e32 v0, v55, v0, vcc_lo
	v_cmp_eq_u32_e32 vcc_lo, 0x40f, v58
	s_delay_alu instid0(VALU_DEP_3) | instskip(NEXT) | instid1(VALU_DEP_3)
	v_and_b32_e32 v12, 0xffff, v12
	v_and_or_b32 v0, 0x8000, v1, v0
	s_wait_alu 0xfffd
	v_cndmask_b32_e32 v14, v65, v14, vcc_lo
	v_cmp_eq_u32_e32 vcc_lo, 0x40f, v60
	s_delay_alu instid0(VALU_DEP_3) | instskip(NEXT) | instid1(VALU_DEP_3)
	v_lshl_or_b32 v0, v0, 16, v12
	v_and_or_b32 v1, 0x8000, v15, v14
	s_wait_alu 0xfffd
	v_cndmask_b32_e32 v24, v59, v24, vcc_lo
	v_cmp_eq_u32_e32 vcc_lo, 0x40f, v62
	v_and_b32_e32 v14, 0xffff, v26
	v_and_b32_e32 v1, 0xffff, v1
	s_delay_alu instid0(VALU_DEP_4)
	v_and_or_b32 v15, 0x8000, v25, v24
	s_wait_alu 0xfffd
	v_cndmask_b32_e32 v34, v61, v34, vcc_lo
	v_cmp_eq_u32_e32 vcc_lo, 0x40f, v64
	v_lshl_or_b32 v2, v2, 16, v14
	s_clause 0x2
	global_store_b32 v[18:19], v2, off
	global_store_b32 v[22:23], v3, off
	;; [unrolled: 1-line block ×3, first 2 shown]
	s_wait_alu 0xfffd
	v_cndmask_b32_e32 v36, v63, v36, vcc_lo
	v_cmp_ne_u32_e32 vcc_lo, 0, v40
	v_lshl_or_b32 v12, v15, 16, v1
	v_lshl_or_b32 v14, v66, 12, v38
	ds_load_2addr_b32 v[0:1], v9 offset0:124 offset1:196
	v_lshrrev_b32_e32 v15, 8, v41
	s_wait_alu 0xfffd
	v_cndmask_b32_e64 v9, 0, 1, vcc_lo
	v_cmp_gt_i32_e32 vcc_lo, 1, v66
	v_bfe_u32 v16, v41, 20, 11
	v_and_or_b32 v11, 0x8000, v35, v34
	v_and_or_b32 v17, 0x8000, v37, v36
	;; [unrolled: 1-line block ×3, first 2 shown]
	s_wait_alu 0xfffd
	v_cndmask_b32_e32 v14, v14, v28, vcc_lo
	v_sub_nc_u32_e32 v15, 0x3f1, v16
	v_and_b32_e32 v11, 0xffff, v11
	global_store_b32 v[32:33], v12, off
	v_or_b32_e32 v19, 0x1000, v9
	v_and_b32_e32 v18, 7, v14
	v_med3_i32 v12, v15, 0, 13
	v_mul_f64_e32 v[2:3], s[24:25], v[42:43]
	v_lshl_or_b32 v20, v17, 16, v11
	v_lshrrev_b32_e32 v11, 2, v14
	v_cmp_lt_i32_e32 vcc_lo, 5, v18
	v_cmp_eq_u32_e64 s0, 3, v18
	v_lshrrev_b32_e32 v17, v12, v19
	s_wait_dscnt 0x0
	v_lshrrev_b32_e32 v18, 16, v0
	s_delay_alu instid0(VALU_DEP_3) | instskip(NEXT) | instid1(VALU_DEP_2)
	s_or_b32 vcc_lo, s0, vcc_lo
	v_lshlrev_b32_e32 v23, v12, v17
	s_wait_alu 0xfffe
	v_add_co_ci_u32_e32 v22, vcc_lo, 0, v11, vcc_lo
	v_mul_f64_e32 v[11:12], s[24:25], v[44:45]
	v_add_co_u32 v14, vcc_lo, v32, s22
	s_wait_alu 0xfffd
	v_add_co_ci_u32_e32 v15, vcc_lo, s23, v33, vcc_lo
	v_cmp_gt_i32_e32 vcc_lo, 31, v66
	v_mul_f16_e32 v24, v18, v21
	global_store_b32 v[14:15], v20, off
	s_wait_alu 0xfffd
	v_cndmask_b32_e32 v22, 0x7c00, v22, vcc_lo
	v_cmp_ne_u32_e32 vcc_lo, v23, v19
	v_add_nc_u32_e32 v23, 0xfffffc10, v16
	v_fmac_f16_e32 v24, v0, v13
	v_mul_f16_e32 v0, v0, v21
	s_wait_alu 0xfffd
	v_cndmask_b32_e64 v19, 0, 1, vcc_lo
	v_cmp_ne_u32_e32 vcc_lo, 0, v38
	v_lshl_or_b32 v25, v23, 12, v9
	v_cvt_f32_f16_e32 v24, v24
	v_fma_f16 v0, v13, v18, -v0
	v_or_b32_e32 v19, v17, v19
	s_wait_alu 0xfffd
	v_cndmask_b32_e64 v16, 0, 1, vcc_lo
	v_cmp_gt_i32_e32 vcc_lo, 1, v23
	v_and_or_b32 v2, 0x1ff, v3, v2
	v_cvt_f32_f16_e32 v0, v0
	s_delay_alu instid0(VALU_DEP_4)
	v_lshl_or_b32 v26, v16, 9, 0x7c00
	v_cvt_f64_f32_e32 v[16:17], v24
	v_lshrrev_b32_e32 v24, 8, v3
	v_bfe_u32 v21, v12, 20, 11
	s_wait_alu 0xfffd
	v_cndmask_b32_e32 v19, v25, v19, vcc_lo
	v_cmp_ne_u32_e32 vcc_lo, 0, v2
	v_bfe_u32 v25, v3, 20, 11
	v_and_or_b32 v11, 0x1ff, v12, v11
	v_lshrrev_b32_e32 v13, 8, v12
	v_and_b32_e32 v28, 7, v19
	s_wait_alu 0xfffd
	v_cndmask_b32_e64 v2, 0, 1, vcc_lo
	v_cmp_eq_u32_e32 vcc_lo, 0x40f, v66
	v_lshrrev_b32_e32 v3, 16, v3
	v_lshrrev_b32_e32 v12, 16, v12
	v_cmp_eq_u32_e64 s0, 3, v28
	v_and_or_b32 v2, 0xffe, v24, v2
	s_wait_alu 0xfffd
	v_cndmask_b32_e32 v22, v22, v26, vcc_lo
	v_cmp_lt_i32_e32 vcc_lo, 5, v28
	v_lshrrev_b32_e32 v28, 16, v39
	v_sub_nc_u32_e32 v24, 0x3f1, v25
	v_or_b32_e32 v26, 0x1000, v2
	v_add_nc_u32_e32 v25, 0xfffffc10, v25
	s_or_b32 vcc_lo, s0, vcc_lo
	v_and_or_b32 v20, 0x8000, v28, v22
	v_add_nc_u32_e32 v22, 0xfffffc10, v21
	v_lshrrev_b32_e32 v19, 2, v19
	v_med3_i32 v24, v24, 0, 13
	s_wait_alu 0xfffe
	s_delay_alu instid0(VALU_DEP_2) | instskip(NEXT) | instid1(VALU_DEP_2)
	v_add_co_ci_u32_e32 v29, vcc_lo, 0, v19, vcc_lo
	v_lshrrev_b32_e32 v30, v24, v26
	v_cmp_ne_u32_e32 vcc_lo, 0, v9
	v_mul_f64_e32 v[16:17], s[24:25], v[16:17]
	s_delay_alu instid0(VALU_DEP_3) | instskip(SKIP_3) | instid1(VALU_DEP_2)
	v_lshlrev_b32_e32 v19, v24, v30
	s_wait_alu 0xfffd
	v_cndmask_b32_e64 v9, 0, 1, vcc_lo
	v_cmp_ne_u32_e32 vcc_lo, 0, v11
	v_lshl_or_b32 v9, v9, 9, 0x7c00
	s_wait_alu 0xfffd
	v_cndmask_b32_e64 v11, 0, 1, vcc_lo
	v_cmp_ne_u32_e32 vcc_lo, v19, v26
	v_cvt_f64_f32_e32 v[18:19], v0
	s_delay_alu instid0(VALU_DEP_3)
	v_and_or_b32 v11, 0xffe, v13, v11
	s_wait_alu 0xfffd
	v_cndmask_b32_e64 v24, 0, 1, vcc_lo
	v_sub_nc_u32_e32 v13, 0x3f1, v21
	v_cmp_gt_i32_e32 vcc_lo, 31, v23
	v_or_b32_e32 v26, 0x1000, v11
	s_delay_alu instid0(VALU_DEP_4)
	v_or_b32_e32 v0, v30, v24
	v_lshl_or_b32 v24, v25, 12, v2
	v_med3_i32 v13, v13, 0, 13
	s_wait_alu 0xfffd
	v_cndmask_b32_e32 v29, 0x7c00, v29, vcc_lo
	v_cmp_gt_i32_e32 vcc_lo, 1, v25
	s_wait_alu 0xfffd
	v_cndmask_b32_e32 v0, v24, v0, vcc_lo
	v_lshrrev_b32_e32 v24, v13, v26
	v_cmp_eq_u32_e32 vcc_lo, 0x40f, v23
	v_lshrrev_b32_e32 v23, 16, v41
	s_delay_alu instid0(VALU_DEP_3)
	v_lshlrev_b32_e32 v13, v13, v24
	s_wait_alu 0xfffd
	v_cndmask_b32_e32 v9, v29, v9, vcc_lo
	v_and_b32_e32 v29, 7, v0
	v_lshrrev_b32_e32 v0, 2, v0
	v_and_or_b32 v16, 0x1ff, v17, v16
	v_cmp_ne_u32_e64 s0, v13, v26
	v_and_or_b32 v9, 0x8000, v23, v9
	v_cmp_lt_i32_e32 vcc_lo, 5, v29
	v_and_b32_e32 v23, 0xffff, v20
	v_lshl_or_b32 v20, v22, 12, v11
	s_wait_alu 0xf1ff
	v_cndmask_b32_e64 v13, 0, 1, s0
	v_cmp_eq_u32_e64 s0, 3, v29
	s_wait_loadcnt 0x3
	v_lshrrev_b32_e32 v26, 16, v7
	v_lshrrev_b32_e32 v28, 8, v17
	v_mul_f64_e32 v[18:19], s[24:25], v[18:19]
	v_or_b32_e32 v13, v24, v13
	s_or_b32 vcc_lo, s0, vcc_lo
	v_lshrrev_b32_e32 v24, 16, v6
	s_wait_alu 0xfffe
	v_add_co_ci_u32_e32 v0, vcc_lo, 0, v0, vcc_lo
	v_cmp_ne_u32_e32 vcc_lo, 0, v2
	v_bfe_u32 v29, v17, 20, 11
	v_lshl_or_b32 v9, v9, 16, v23
	v_lshrrev_b32_e32 v17, 16, v17
	s_wait_alu 0xfffd
	v_cndmask_b32_e64 v2, 0, 1, vcc_lo
	v_cmp_gt_i32_e32 vcc_lo, 1, v22
	s_delay_alu instid0(VALU_DEP_2)
	v_lshl_or_b32 v2, v2, 9, 0x7c00
	s_wait_alu 0xfffd
	v_cndmask_b32_e32 v13, v20, v13, vcc_lo
	v_cmp_gt_i32_e32 vcc_lo, 31, v25
	v_mul_f16_e32 v20, v24, v26
	s_wait_alu 0xfffd
	v_cndmask_b32_e32 v0, 0x7c00, v0, vcc_lo
	v_cmp_ne_u32_e32 vcc_lo, 0, v16
	s_delay_alu instid0(VALU_DEP_3)
	v_fmac_f16_e32 v20, v6, v7
	v_mul_f16_e32 v6, v6, v26
	s_wait_alu 0xfffd
	v_cndmask_b32_e64 v16, 0, 1, vcc_lo
	v_cmp_eq_u32_e32 vcc_lo, 0x40f, v25
	v_sub_nc_u32_e32 v25, 0x3f1, v29
	s_delay_alu instid0(VALU_DEP_3) | instskip(SKIP_4) | instid1(VALU_DEP_3)
	v_and_or_b32 v16, 0xffe, v28, v16
	s_wait_alu 0xfffd
	v_cndmask_b32_e32 v0, v0, v2, vcc_lo
	v_cvt_f32_f16_e32 v2, v20
	v_med3_i32 v25, v25, 0, 13
	v_and_or_b32 v0, 0x8000, v3, v0
	s_delay_alu instid0(VALU_DEP_1) | instskip(SKIP_1) | instid1(VALU_DEP_1)
	v_and_b32_e32 v0, 0xffff, v0
	v_and_b32_e32 v21, 7, v13
	v_cmp_lt_i32_e32 vcc_lo, 5, v21
	v_cmp_eq_u32_e64 s0, 3, v21
	v_cvt_f64_f32_e32 v[20:21], v2
	v_lshrrev_b32_e32 v2, 2, v13
	v_or_b32_e32 v13, 0x1000, v16
	s_delay_alu instid0(VALU_DEP_4) | instskip(SKIP_1) | instid1(VALU_DEP_2)
	s_or_b32 vcc_lo, s0, vcc_lo
	s_wait_alu 0xfffe
	v_add_co_ci_u32_e32 v2, vcc_lo, 0, v2, vcc_lo
	v_cmp_ne_u32_e32 vcc_lo, 0, v11
	v_lshrrev_b32_e32 v28, v25, v13
	s_wait_alu 0xfffd
	v_cndmask_b32_e64 v11, 0, 1, vcc_lo
	v_cmp_gt_i32_e32 vcc_lo, 31, v22
	s_delay_alu instid0(VALU_DEP_3) | instskip(NEXT) | instid1(VALU_DEP_3)
	v_lshlrev_b32_e32 v3, v25, v28
	v_lshl_or_b32 v11, v11, 9, 0x7c00
	s_wait_alu 0xfffd
	v_cndmask_b32_e32 v2, 0x7c00, v2, vcc_lo
	v_cmp_eq_u32_e32 vcc_lo, 0x40f, v22
	v_bfe_u32 v22, v19, 20, 11
	s_wait_alu 0xfffd
	s_delay_alu instid0(VALU_DEP_3)
	v_cndmask_b32_e32 v11, v2, v11, vcc_lo
	v_fma_f16 v2, v7, v24, -v6
	v_cmp_ne_u32_e32 vcc_lo, v3, v13
	v_and_or_b32 v6, 0x1ff, v19, v18
	v_add_nc_u32_e32 v18, 0xfffffc10, v29
	v_lshrrev_b32_e32 v7, 8, v19
	v_cvt_f32_f16_e32 v2, v2
	s_wait_alu 0xfffd
	v_cndmask_b32_e64 v3, 0, 1, vcc_lo
	v_cmp_ne_u32_e32 vcc_lo, 0, v6
	v_lshl_or_b32 v24, v18, 12, v16
	v_sub_nc_u32_e32 v26, 0x3f1, v22
	v_add_nc_u32_e32 v22, 0xfffffc10, v22
	v_or_b32_e32 v13, v28, v3
	v_cvt_f64_f32_e32 v[2:3], v2
	s_wait_alu 0xfffd
	v_cndmask_b32_e64 v6, 0, 1, vcc_lo
	v_cmp_gt_i32_e32 vcc_lo, 1, v18
	v_lshrrev_b32_e32 v19, 16, v19
	s_delay_alu instid0(VALU_DEP_3)
	v_and_or_b32 v25, 0xffe, v7, v6
	v_mul_f64_e32 v[6:7], s[24:25], v[20:21]
	s_wait_alu 0xfffd
	v_cndmask_b32_e32 v13, v24, v13, vcc_lo
	v_med3_i32 v20, v26, 0, 13
	v_and_or_b32 v21, 0x8000, v12, v11
	v_or_b32_e32 v24, 0x1000, v25
	v_add_co_u32 v11, vcc_lo, v14, s22
	v_and_b32_e32 v23, 7, v13
	s_delay_alu instid0(VALU_DEP_4) | instskip(NEXT) | instid1(VALU_DEP_4)
	v_lshl_or_b32 v21, v21, 16, v0
	v_lshrrev_b32_e32 v26, v20, v24
	s_wait_alu 0xfffd
	v_add_co_ci_u32_e32 v12, vcc_lo, s23, v15, vcc_lo
	v_cmp_lt_i32_e32 vcc_lo, 5, v23
	v_cmp_eq_u32_e64 s0, 3, v23
	v_lshlrev_b32_e32 v0, v20, v26
	v_lshrrev_b32_e32 v13, 2, v13
	v_lshrrev_b32_e32 v20, 16, v1
	s_wait_loadcnt 0x2
	v_lshrrev_b32_e32 v23, 16, v4
	s_or_b32 vcc_lo, s0, vcc_lo
	v_cmp_ne_u32_e64 s1, v0, v24
	s_wait_alu 0xfffe
	v_add_co_ci_u32_e32 v13, vcc_lo, 0, v13, vcc_lo
	v_mul_f16_e32 v14, v20, v23
	v_cmp_ne_u32_e32 vcc_lo, 0, v16
	s_wait_alu 0xf1ff
	v_cndmask_b32_e64 v0, 0, 1, s1
	v_lshl_or_b32 v15, v22, 12, v25
	v_mul_f16_e32 v23, v1, v23
	v_fmac_f16_e32 v14, v1, v4
	s_wait_alu 0xfffd
	v_cndmask_b32_e64 v16, 0, 1, vcc_lo
	v_or_b32_e32 v0, v26, v0
	v_cmp_gt_i32_e32 vcc_lo, 1, v22
	v_mul_f64_e32 v[2:3], s[24:25], v[2:3]
	v_cvt_f32_f16_e32 v14, v14
	v_lshl_or_b32 v26, v16, 9, 0x7c00
	v_fma_f16 v4, v4, v20, -v23
	s_wait_alu 0xfffd
	v_cndmask_b32_e32 v0, v15, v0, vcc_lo
	v_cmp_gt_i32_e32 vcc_lo, 31, v18
	v_and_or_b32 v6, 0x1ff, v7, v6
	v_cvt_f32_f16_e32 v4, v4
	s_delay_alu instid0(VALU_DEP_4)
	v_and_b32_e32 v28, 7, v0
	s_wait_alu 0xfffd
	v_cndmask_b32_e32 v24, 0x7c00, v13, vcc_lo
	v_cvt_f64_f32_e32 v[13:14], v14
	v_add_co_u32 v15, vcc_lo, v11, s22
	s_wait_alu 0xfffd
	v_add_co_ci_u32_e32 v16, vcc_lo, s23, v12, vcc_lo
	v_cmp_eq_u32_e32 vcc_lo, 0x40f, v18
	v_cmp_ne_u32_e64 s0, 0, v6
	v_lshrrev_b32_e32 v0, 2, v0
	s_wait_alu 0xfffd
	v_cndmask_b32_e32 v18, v24, v26, vcc_lo
	v_cmp_lt_i32_e32 vcc_lo, 5, v28
	s_wait_alu 0xf1ff
	v_cndmask_b32_e64 v6, 0, 1, s0
	v_cmp_eq_u32_e64 s0, 3, v28
	v_lshrrev_b32_e32 v24, 8, v7
	v_bfe_u32 v26, v7, 20, 11
	v_and_or_b32 v29, 0x8000, v17, v18
	v_lshrrev_b32_e32 v7, 16, v7
	s_or_b32 vcc_lo, s0, vcc_lo
	v_and_or_b32 v6, 0xffe, v24, v6
	s_wait_alu 0xfffe
	v_add_co_ci_u32_e32 v0, vcc_lo, 0, v0, vcc_lo
	v_sub_nc_u32_e32 v24, 0x3f1, v26
	v_cmp_ne_u32_e32 vcc_lo, 0, v25
	v_or_b32_e32 v28, 0x1000, v6
	v_add_nc_u32_e32 v20, 0xfffffc10, v26
	s_delay_alu instid0(VALU_DEP_4)
	v_med3_i32 v24, v24, 0, 13
	s_wait_alu 0xfffd
	v_cndmask_b32_e64 v25, 0, 1, vcc_lo
	v_cmp_gt_i32_e32 vcc_lo, 31, v22
	v_and_or_b32 v2, 0x1ff, v3, v2
	v_lshl_or_b32 v26, v20, 12, v6
	v_lshrrev_b32_e32 v17, v24, v28
	v_lshl_or_b32 v25, v25, 9, 0x7c00
	s_wait_alu 0xfffd
	v_cndmask_b32_e32 v0, 0x7c00, v0, vcc_lo
	v_cmp_eq_u32_e32 vcc_lo, 0x40f, v22
	v_lshlrev_b32_e32 v18, v24, v17
	v_lshrrev_b32_e32 v24, 8, v3
	s_wait_alu 0xfffd
	v_cndmask_b32_e32 v22, v0, v25, vcc_lo
	v_cmp_ne_u32_e32 vcc_lo, 0, v2
	v_bfe_u32 v25, v3, 20, 11
	v_mul_f64_e32 v[0:1], s[24:25], v[13:14]
	ds_load_2addr_b32 v[13:14], v8 offset0:104 offset1:140
	global_store_b32 v[11:12], v9, off
	global_store_b32 v[15:16], v21, off
	s_wait_alu 0xfffd
	v_cndmask_b32_e64 v2, 0, 1, vcc_lo
	v_cmp_ne_u32_e32 vcc_lo, v18, v28
	v_sub_nc_u32_e32 v23, 0x3f1, v25
	v_add_nc_u32_e32 v25, 0xfffffc10, v25
	v_lshrrev_b32_e32 v3, 16, v3
	v_and_or_b32 v2, 0xffe, v24, v2
	s_wait_alu 0xfffd
	v_cndmask_b32_e64 v18, 0, 1, vcc_lo
	v_med3_i32 v23, v23, 0, 13
	v_cmp_gt_i32_e32 vcc_lo, 1, v20
	v_or_b32_e32 v28, 0x1000, v2
	s_delay_alu instid0(VALU_DEP_4) | instskip(SKIP_3) | instid1(VALU_DEP_3)
	v_or_b32_e32 v24, v17, v18
	v_cvt_f64_f32_e32 v[17:18], v4
	v_and_or_b32 v4, 0x8000, v19, v22
	s_wait_alu 0xfffd
	v_dual_cndmask_b32 v22, v26, v24 :: v_dual_and_b32 v19, 0xffff, v29
	v_lshrrev_b32_e32 v24, v23, v28
	v_add_co_u32 v11, vcc_lo, v15, s22
	s_delay_alu instid0(VALU_DEP_3) | instskip(NEXT) | instid1(VALU_DEP_4)
	v_lshl_or_b32 v19, v4, 16, v19
	v_and_b32_e32 v4, 7, v22
	s_delay_alu instid0(VALU_DEP_4)
	v_lshlrev_b32_e32 v9, v23, v24
	s_wait_alu 0xfffd
	v_add_co_ci_u32_e32 v12, vcc_lo, s23, v16, vcc_lo
	s_wait_dscnt 0x0
	v_lshrrev_b32_e32 v21, 16, v13
	s_wait_loadcnt 0x1
	v_lshrrev_b32_e32 v23, 16, v5
	v_cmp_ne_u32_e64 s0, v9, v28
	v_cmp_lt_i32_e32 vcc_lo, 5, v4
	v_lshl_or_b32 v16, v25, 12, v2
	s_delay_alu instid0(VALU_DEP_4)
	v_mul_f16_e32 v15, v21, v23
	s_wait_alu 0xf1ff
	v_cndmask_b32_e64 v9, 0, 1, s0
	v_cmp_eq_u32_e64 s0, 3, v4
	v_lshrrev_b32_e32 v4, 2, v22
	v_and_or_b32 v0, 0x1ff, v1, v0
	v_fmac_f16_e32 v15, v13, v5
	v_or_b32_e32 v9, v24, v9
	s_or_b32 vcc_lo, s0, vcc_lo
	v_lshrrev_b32_e32 v22, 8, v1
	s_wait_alu 0xfffe
	v_add_co_ci_u32_e32 v4, vcc_lo, 0, v4, vcc_lo
	v_cmp_gt_i32_e32 vcc_lo, 1, v25
	v_cvt_f32_f16_e32 v15, v15
	v_bfe_u32 v24, v1, 20, 11
	v_mul_f16_e32 v13, v13, v23
	s_wait_alu 0xfffd
	v_cndmask_b32_e32 v9, v16, v9, vcc_lo
	v_cmp_ne_u32_e32 vcc_lo, 0, v0
	v_cvt_f64_f32_e32 v[15:16], v15
	v_mul_f64_e32 v[17:18], s[24:25], v[17:18]
	v_cmp_eq_u32_e64 s1, 0x40f, v20
	v_and_b32_e32 v26, 7, v9
	s_wait_alu 0xfffd
	v_cndmask_b32_e64 v0, 0, 1, vcc_lo
	v_cmp_ne_u32_e32 vcc_lo, 0, v6
	v_lshrrev_b32_e32 v9, 2, v9
	v_fma_f16 v5, v5, v21, -v13
	v_cmp_eq_u32_e64 s0, 3, v26
	v_and_or_b32 v0, 0xffe, v22, v0
	s_wait_alu 0xfffd
	v_cndmask_b32_e64 v6, 0, 1, vcc_lo
	v_cmp_gt_i32_e32 vcc_lo, 31, v20
	v_sub_nc_u32_e32 v22, 0x3f1, v24
	v_cvt_f32_f16_e32 v5, v5
	v_or_b32_e32 v28, 0x1000, v0
	v_lshl_or_b32 v6, v6, 9, 0x7c00
	s_wait_alu 0xfffd
	v_cndmask_b32_e32 v4, 0x7c00, v4, vcc_lo
	v_cmp_lt_i32_e32 vcc_lo, 5, v26
	v_med3_i32 v22, v22, 0, 13
	s_wait_loadcnt 0x0
	v_lshrrev_b32_e32 v21, 16, v10
	s_wait_alu 0xf1ff
	v_cndmask_b32_e64 v4, v4, v6, s1
	s_or_b32 vcc_lo, s0, vcc_lo
	v_lshrrev_b32_e32 v6, v22, v28
	s_wait_alu 0xfffe
	v_add_co_ci_u32_e32 v9, vcc_lo, 0, v9, vcc_lo
	v_cmp_ne_u32_e32 vcc_lo, 0, v2
	v_and_or_b32 v4, 0x8000, v7, v4
	s_wait_alu 0xfffd
	v_cndmask_b32_e64 v2, 0, 1, vcc_lo
	v_cmp_gt_i32_e32 vcc_lo, 31, v25
	v_lshlrev_b32_e32 v20, v22, v6
	v_and_b32_e32 v4, 0xffff, v4
	s_delay_alu instid0(VALU_DEP_4)
	v_lshl_or_b32 v2, v2, 9, 0x7c00
	s_wait_alu 0xfffd
	v_cndmask_b32_e32 v9, 0x7c00, v9, vcc_lo
	v_cmp_ne_u32_e32 vcc_lo, v20, v28
	s_wait_alu 0xfffd
	v_cndmask_b32_e64 v20, 0, 1, vcc_lo
	v_cmp_eq_u32_e32 vcc_lo, 0x40f, v25
	s_wait_alu 0xfffd
	v_cndmask_b32_e32 v2, v9, v2, vcc_lo
	s_delay_alu instid0(VALU_DEP_3)
	v_or_b32_e32 v9, v6, v20
	v_add_nc_u32_e32 v22, 0xfffffc10, v24
	v_mul_f64_e32 v[6:7], s[24:25], v[15:16]
	v_and_or_b32 v15, 0x1ff, v18, v17
	v_bfe_u32 v16, v18, 20, 11
	v_and_or_b32 v17, 0x8000, v3, v2
	v_lshl_or_b32 v20, v22, 12, v0
	v_cmp_gt_i32_e32 vcc_lo, 1, v22
	v_cvt_f64_f32_e32 v[2:3], v5
	v_sub_nc_u32_e32 v5, 0x3f1, v16
	v_lshl_or_b32 v17, v17, 16, v4
	s_wait_alu 0xfffd
	v_dual_cndmask_b32 v9, v20, v9 :: v_dual_add_nc_u32 v16, 0xfffffc10, v16
	v_cmp_ne_u32_e32 vcc_lo, 0, v15
	v_lshrrev_b32_e32 v15, 8, v18
	v_med3_i32 v5, v5, 0, 13
	s_delay_alu instid0(VALU_DEP_4) | instskip(SKIP_3) | instid1(VALU_DEP_3)
	v_and_b32_e32 v20, 7, v9
	s_wait_alu 0xfffd
	v_cndmask_b32_e64 v13, 0, 1, vcc_lo
	v_lshrrev_b32_e32 v4, 2, v9
	v_cmp_lt_i32_e32 vcc_lo, 5, v20
	s_delay_alu instid0(VALU_DEP_3) | instskip(SKIP_2) | instid1(VALU_DEP_3)
	v_and_or_b32 v13, 0xffe, v15, v13
	v_cmp_eq_u32_e64 s0, 3, v20
	v_lshrrev_b32_e32 v15, 16, v14
	v_or_b32_e32 v23, 0x1000, v13
	s_delay_alu instid0(VALU_DEP_3) | instskip(NEXT) | instid1(VALU_DEP_2)
	s_or_b32 vcc_lo, s0, vcc_lo
	v_mul_f16_e32 v24, v15, v21
	s_wait_alu 0xfffe
	v_add_co_ci_u32_e32 v4, vcc_lo, 0, v4, vcc_lo
	v_lshrrev_b32_e32 v9, v5, v23
	v_cmp_ne_u32_e32 vcc_lo, 0, v0
	v_fmac_f16_e32 v24, v14, v10
	v_mul_f16_e32 v14, v14, v21
	s_delay_alu instid0(VALU_DEP_4)
	v_lshlrev_b32_e32 v20, v5, v9
	s_wait_alu 0xfffd
	v_cndmask_b32_e64 v0, 0, 1, vcc_lo
	v_cmp_gt_i32_e32 vcc_lo, 31, v22
	v_cvt_f32_f16_e32 v5, v24
	v_and_or_b32 v6, 0x1ff, v7, v6
	v_lshrrev_b32_e32 v21, 8, v7
	v_fma_f16 v10, v10, v15, -v14
	s_wait_alu 0xfffd
	v_cndmask_b32_e32 v24, 0x7c00, v4, vcc_lo
	v_cmp_ne_u32_e32 vcc_lo, v20, v23
	v_cvt_f64_f32_e32 v[4:5], v5
	v_lshl_or_b32 v14, v16, 12, v13
	v_mul_f64_e32 v[2:3], s[24:25], v[2:3]
	v_lshl_or_b32 v0, v0, 9, 0x7c00
	s_wait_alu 0xfffd
	v_cndmask_b32_e64 v20, 0, 1, vcc_lo
	v_cmp_ne_u32_e32 vcc_lo, 0, v6
	v_cvt_f32_f16_e32 v10, v10
	v_lshrrev_b32_e32 v23, 16, v1
	s_delay_alu instid0(VALU_DEP_4)
	v_or_b32_e32 v9, v9, v20
	s_wait_alu 0xfffd
	v_cndmask_b32_e64 v6, 0, 1, vcc_lo
	v_bfe_u32 v20, v7, 20, 11
	v_cmp_gt_i32_e32 vcc_lo, 1, v16
	v_lshrrev_b32_e32 v7, 16, v7
	s_delay_alu instid0(VALU_DEP_4) | instskip(NEXT) | instid1(VALU_DEP_4)
	v_and_or_b32 v6, 0xffe, v21, v6
	v_sub_nc_u32_e32 v15, 0x3f1, v20
	s_wait_alu 0xfffd
	v_cndmask_b32_e32 v14, v14, v9, vcc_lo
	v_cmp_eq_u32_e32 vcc_lo, 0x40f, v22
	v_cvt_f64_f32_e32 v[9:10], v10
	v_or_b32_e32 v21, 0x1000, v6
	v_med3_i32 v15, v15, 0, 13
	v_add_nc_u32_e32 v20, 0xfffffc10, v20
	s_delay_alu instid0(VALU_DEP_2) | instskip(SKIP_1) | instid1(VALU_DEP_1)
	v_lshrrev_b32_e32 v25, v15, v21
	s_wait_alu 0xfffd
	v_dual_cndmask_b32 v22, v24, v0 :: v_dual_lshlrev_b32 v15, v15, v25
	v_and_b32_e32 v24, 7, v14
	v_add_co_u32 v0, vcc_lo, v11, s22
	s_wait_alu 0xfffd
	v_add_co_ci_u32_e32 v1, vcc_lo, s23, v12, vcc_lo
	s_delay_alu instid0(VALU_DEP_3)
	v_cmp_lt_i32_e32 vcc_lo, 5, v24
	v_cmp_eq_u32_e64 s0, 3, v24
	v_lshrrev_b32_e32 v14, 2, v14
	v_cmp_ne_u32_e64 s1, v15, v21
	v_mul_f64_e32 v[4:5], s[24:25], v[4:5]
	v_lshl_or_b32 v21, v20, 12, v6
	s_or_b32 vcc_lo, s0, vcc_lo
	v_and_or_b32 v2, 0x1ff, v3, v2
	s_wait_alu 0xfffe
	v_add_co_ci_u32_e32 v14, vcc_lo, 0, v14, vcc_lo
	v_cmp_ne_u32_e32 vcc_lo, 0, v13
	v_cndmask_b32_e64 v15, 0, 1, s1
	v_and_or_b32 v22, 0x8000, v23, v22
	s_wait_alu 0xfffd
	v_cndmask_b32_e64 v13, 0, 1, vcc_lo
	v_cmp_gt_i32_e32 vcc_lo, 31, v16
	v_or_b32_e32 v15, v25, v15
	v_mul_f64_e32 v[9:10], s[24:25], v[9:10]
	s_delay_alu instid0(VALU_DEP_4)
	v_lshl_or_b32 v13, v13, 9, 0x7c00
	s_wait_alu 0xfffd
	v_cndmask_b32_e32 v14, 0x7c00, v14, vcc_lo
	v_cmp_gt_i32_e32 vcc_lo, 1, v20
	s_wait_alu 0xfffd
	v_cndmask_b32_e32 v15, v21, v15, vcc_lo
	v_cmp_eq_u32_e32 vcc_lo, 0x40f, v16
	v_bfe_u32 v21, v3, 20, 11
	s_wait_alu 0xfffd
	s_delay_alu instid0(VALU_DEP_3) | instskip(SKIP_3) | instid1(VALU_DEP_4)
	v_dual_cndmask_b32 v13, v14, v13 :: v_dual_and_b32 v16, 7, v15
	v_lshrrev_b32_e32 v14, 16, v18
	v_cmp_ne_u32_e32 vcc_lo, 0, v2
	v_lshrrev_b32_e32 v18, 8, v3
	v_cmp_eq_u32_e64 s0, 3, v16
	v_lshrrev_b32_e32 v3, 16, v3
	v_and_or_b32 v13, 0x8000, v14, v13
	v_and_b32_e32 v14, 0xffff, v22
	s_wait_alu 0xfffd
	v_cndmask_b32_e64 v2, 0, 1, vcc_lo
	v_cmp_lt_i32_e32 vcc_lo, 5, v16
	v_and_or_b32 v4, 0x1ff, v5, v4
	v_lshrrev_b32_e32 v22, 8, v5
	v_lshl_or_b32 v13, v13, 16, v14
	v_lshrrev_b32_e32 v14, 2, v15
	v_and_or_b32 v2, 0xffe, v18, v2
	v_sub_nc_u32_e32 v18, 0x3f1, v21
	s_or_b32 vcc_lo, s0, vcc_lo
	v_bfe_u32 v23, v5, 20, 11
	s_wait_alu 0xfffe
	v_add_co_ci_u32_e32 v14, vcc_lo, 0, v14, vcc_lo
	v_or_b32_e32 v15, 0x1000, v2
	v_med3_i32 v16, v18, 0, 13
	v_cmp_ne_u32_e32 vcc_lo, 0, v6
	v_lshrrev_b32_e32 v5, 16, v5
	v_and_or_b32 v9, 0x1ff, v10, v9
	s_delay_alu instid0(VALU_DEP_4) | instskip(SKIP_3) | instid1(VALU_DEP_3)
	v_lshrrev_b32_e32 v18, v16, v15
	s_wait_alu 0xfffd
	v_cndmask_b32_e64 v6, 0, 1, vcc_lo
	v_cmp_gt_i32_e32 vcc_lo, 31, v20
	v_lshlrev_b32_e32 v16, v16, v18
	s_delay_alu instid0(VALU_DEP_3)
	v_lshl_or_b32 v6, v6, 9, 0x7c00
	s_wait_alu 0xfffd
	v_cndmask_b32_e32 v14, 0x7c00, v14, vcc_lo
	v_cmp_ne_u32_e32 vcc_lo, 0, v4
	s_wait_alu 0xfffd
	v_cndmask_b32_e64 v4, 0, 1, vcc_lo
	v_cmp_ne_u32_e32 vcc_lo, v16, v15
	v_add_nc_u32_e32 v16, 0xfffffc10, v21
	v_sub_nc_u32_e32 v21, 0x3f1, v23
	s_delay_alu instid0(VALU_DEP_4)
	v_and_or_b32 v4, 0xffe, v22, v4
	s_wait_alu 0xfffd
	v_cndmask_b32_e64 v15, 0, 1, vcc_lo
	v_cmp_eq_u32_e32 vcc_lo, 0x40f, v20
	v_med3_i32 v20, v21, 0, 13
	v_lshrrev_b32_e32 v21, 8, v10
	v_bfe_u32 v22, v10, 20, 11
	s_wait_alu 0xfffd
	v_cndmask_b32_e32 v6, v14, v6, vcc_lo
	v_or_b32_e32 v14, v18, v15
	v_lshl_or_b32 v15, v16, 12, v2
	v_or_b32_e32 v18, 0x1000, v4
	v_cmp_gt_i32_e32 vcc_lo, 1, v16
	v_and_or_b32 v6, 0x8000, v7, v6
	s_wait_alu 0xfffd
	v_cndmask_b32_e32 v14, v15, v14, vcc_lo
	v_lshrrev_b32_e32 v15, v20, v18
	v_cmp_ne_u32_e32 vcc_lo, 0, v9
	v_and_b32_e32 v6, 0xffff, v6
	s_delay_alu instid0(VALU_DEP_4) | instskip(NEXT) | instid1(VALU_DEP_4)
	v_and_b32_e32 v24, 7, v14
	v_lshlrev_b32_e32 v20, v20, v15
	s_wait_alu 0xfffd
	v_cndmask_b32_e64 v9, 0, 1, vcc_lo
	v_lshrrev_b32_e32 v14, 2, v14
	v_cmp_lt_i32_e32 vcc_lo, 5, v24
	v_cmp_ne_u32_e64 s0, v20, v18
	s_delay_alu instid0(VALU_DEP_4)
	v_and_or_b32 v7, 0xffe, v21, v9
	v_sub_nc_u32_e32 v9, 0x3f1, v22
	v_add_nc_u32_e32 v21, 0xfffffc10, v23
	s_wait_alu 0xf1ff
	v_cndmask_b32_e64 v18, 0, 1, s0
	v_cmp_eq_u32_e64 s0, 3, v24
	v_or_b32_e32 v20, 0x1000, v7
	v_med3_i32 v9, v9, 0, 13
	v_lshl_or_b32 v23, v21, 12, v4
	v_or_b32_e32 v15, v15, v18
	s_or_b32 vcc_lo, s0, vcc_lo
	s_wait_alu 0xfffe
	v_add_co_ci_u32_e32 v14, vcc_lo, 0, v14, vcc_lo
	v_lshrrev_b32_e32 v18, v9, v20
	v_cmp_gt_i32_e32 vcc_lo, 1, v21
	s_delay_alu instid0(VALU_DEP_2)
	v_lshlrev_b32_e32 v9, v9, v18
	s_wait_alu 0xfffd
	v_cndmask_b32_e32 v15, v23, v15, vcc_lo
	v_cmp_ne_u32_e32 vcc_lo, 0, v2
	s_wait_alu 0xfffd
	v_cndmask_b32_e64 v2, 0, 1, vcc_lo
	v_cmp_ne_u32_e32 vcc_lo, v9, v20
	v_add_nc_u32_e32 v20, 0xfffffc10, v22
	v_and_b32_e32 v22, 7, v15
	s_delay_alu instid0(VALU_DEP_4)
	v_lshl_or_b32 v2, v2, 9, 0x7c00
	s_wait_alu 0xfffd
	v_cndmask_b32_e64 v9, 0, 1, vcc_lo
	v_cmp_gt_i32_e32 vcc_lo, 31, v16
	v_cmp_gt_i32_e64 s1, 1, v20
	v_cmp_eq_u32_e64 s0, 3, v22
	s_delay_alu instid0(VALU_DEP_4)
	v_or_b32_e32 v9, v18, v9
	v_lshl_or_b32 v18, v20, 12, v7
	s_wait_alu 0xfffd
	v_cndmask_b32_e32 v14, 0x7c00, v14, vcc_lo
	v_cmp_lt_i32_e32 vcc_lo, 5, v22
	s_wait_alu 0xf1ff
	v_cndmask_b32_e64 v9, v18, v9, s1
	v_cmp_eq_u32_e64 s1, 0x40f, v16
	s_or_b32 vcc_lo, s0, vcc_lo
	s_delay_alu instid0(VALU_DEP_1)
	v_cndmask_b32_e64 v2, v14, v2, s1
	v_lshrrev_b32_e32 v14, 2, v15
	v_and_b32_e32 v15, 7, v9
	v_lshrrev_b32_e32 v9, 2, v9
	v_cmp_gt_i32_e64 s1, 31, v21
	s_wait_alu 0xfffe
	v_add_co_ci_u32_e32 v14, vcc_lo, 0, v14, vcc_lo
	v_cmp_ne_u32_e32 vcc_lo, 0, v4
	v_cmp_eq_u32_e64 s0, 3, v15
	s_wait_alu 0xf1ff
	s_delay_alu instid0(VALU_DEP_3) | instskip(SKIP_3) | instid1(VALU_DEP_2)
	v_cndmask_b32_e64 v14, 0x7c00, v14, s1
	s_wait_alu 0xfffd
	v_cndmask_b32_e64 v4, 0, 1, vcc_lo
	v_cmp_lt_i32_e32 vcc_lo, 5, v15
	v_lshl_or_b32 v4, v4, 9, 0x7c00
	s_or_b32 vcc_lo, s0, vcc_lo
	s_wait_alu 0xfffe
	v_add_co_ci_u32_e32 v9, vcc_lo, 0, v9, vcc_lo
	v_cmp_ne_u32_e32 vcc_lo, 0, v7
	s_wait_alu 0xfffd
	v_cndmask_b32_e64 v7, 0, 1, vcc_lo
	v_cmp_eq_u32_e32 vcc_lo, 0x40f, v21
	s_delay_alu instid0(VALU_DEP_2) | instskip(SKIP_4) | instid1(VALU_DEP_3)
	v_lshl_or_b32 v7, v7, 9, 0x7c00
	s_wait_alu 0xfffd
	v_cndmask_b32_e32 v4, v14, v4, vcc_lo
	v_cmp_gt_i32_e32 vcc_lo, 31, v20
	v_and_or_b32 v14, 0x8000, v3, v2
	v_and_or_b32 v4, 0x8000, v5, v4
	s_wait_alu 0xfffd
	v_cndmask_b32_e32 v9, 0x7c00, v9, vcc_lo
	v_cmp_eq_u32_e32 vcc_lo, 0x40f, v20
	s_wait_alu 0xfffd
	s_delay_alu instid0(VALU_DEP_2)
	v_cndmask_b32_e32 v5, v9, v7, vcc_lo
	v_lshrrev_b32_e32 v7, 16, v10
	v_add_co_u32 v2, vcc_lo, v0, s22
	s_wait_alu 0xfffd
	v_add_co_ci_u32_e32 v3, vcc_lo, s23, v1, vcc_lo
	v_lshl_or_b32 v9, v14, 16, v6
	v_and_or_b32 v6, 0x8000, v7, v5
	v_and_b32_e32 v7, 0xffff, v4
	v_add_co_u32 v4, vcc_lo, v2, s22
	s_wait_alu 0xfffd
	v_add_co_ci_u32_e32 v5, vcc_lo, s23, v3, vcc_lo
	s_delay_alu instid0(VALU_DEP_3) | instskip(NEXT) | instid1(VALU_DEP_3)
	v_lshl_or_b32 v10, v6, 16, v7
	v_add_co_u32 v6, vcc_lo, v4, s22
	s_wait_alu 0xfffd
	s_delay_alu instid0(VALU_DEP_3)
	v_add_co_ci_u32_e32 v7, vcc_lo, s23, v5, vcc_lo
	global_store_b32 v[11:12], v19, off
	global_store_b32 v[0:1], v17, off
	;; [unrolled: 1-line block ×5, first 2 shown]
	global_load_b32 v2, v27, s[20:21] offset:1728
	ds_load_2addr_b32 v[0:1], v8 offset0:176 offset1:212
	s_wait_dscnt 0x0
	v_lshrrev_b32_e32 v3, 16, v0
	s_wait_loadcnt 0x0
	v_lshrrev_b32_e32 v4, 16, v2
	s_delay_alu instid0(VALU_DEP_1) | instskip(SKIP_1) | instid1(VALU_DEP_2)
	v_mul_f16_e32 v5, v3, v4
	v_mul_f16_e32 v4, v0, v4
	v_fmac_f16_e32 v5, v0, v2
	s_delay_alu instid0(VALU_DEP_2) | instskip(NEXT) | instid1(VALU_DEP_2)
	v_fma_f16 v0, v2, v3, -v4
	v_cvt_f32_f16_e32 v2, v5
	s_delay_alu instid0(VALU_DEP_2) | instskip(NEXT) | instid1(VALU_DEP_2)
	v_cvt_f32_f16_e32 v0, v0
	v_cvt_f64_f32_e32 v[2:3], v2
	s_delay_alu instid0(VALU_DEP_2) | instskip(NEXT) | instid1(VALU_DEP_2)
	v_cvt_f64_f32_e32 v[4:5], v0
	v_mul_f64_e32 v[2:3], s[24:25], v[2:3]
	s_delay_alu instid0(VALU_DEP_2) | instskip(NEXT) | instid1(VALU_DEP_2)
	v_mul_f64_e32 v[4:5], s[24:25], v[4:5]
	v_and_or_b32 v0, 0x1ff, v3, v2
	s_delay_alu instid0(VALU_DEP_2)
	v_and_or_b32 v2, 0x1ff, v5, v4
	v_lshrrev_b32_e32 v4, 8, v3
	v_bfe_u32 v8, v3, 20, 11
	v_lshrrev_b32_e32 v9, 8, v5
	v_cmp_ne_u32_e32 vcc_lo, 0, v0
	v_bfe_u32 v10, v5, 20, 11
	v_lshrrev_b32_e32 v3, 16, v3
	s_wait_alu 0xfffd
	v_cndmask_b32_e64 v0, 0, 1, vcc_lo
	v_cmp_ne_u32_e32 vcc_lo, 0, v2
	s_delay_alu instid0(VALU_DEP_2)
	v_and_or_b32 v0, 0xffe, v4, v0
	s_wait_alu 0xfffd
	v_cndmask_b32_e64 v2, 0, 1, vcc_lo
	v_sub_nc_u32_e32 v4, 0x3f1, v8
	v_add_nc_u32_e32 v8, 0xfffffc10, v8
	v_or_b32_e32 v11, 0x1000, v0
	s_delay_alu instid0(VALU_DEP_4) | instskip(SKIP_3) | instid1(VALU_DEP_4)
	v_and_or_b32 v2, 0xffe, v9, v2
	v_sub_nc_u32_e32 v9, 0x3f1, v10
	v_med3_i32 v4, v4, 0, 13
	v_add_nc_u32_e32 v10, 0xfffffc10, v10
	v_or_b32_e32 v12, 0x1000, v2
	s_delay_alu instid0(VALU_DEP_4) | instskip(NEXT) | instid1(VALU_DEP_4)
	v_med3_i32 v9, v9, 0, 13
	v_lshrrev_b32_e32 v13, v4, v11
	s_delay_alu instid0(VALU_DEP_2) | instskip(NEXT) | instid1(VALU_DEP_2)
	v_lshrrev_b32_e32 v14, v9, v12
	v_lshlrev_b32_e32 v4, v4, v13
	s_delay_alu instid0(VALU_DEP_2) | instskip(NEXT) | instid1(VALU_DEP_2)
	v_lshlrev_b32_e32 v9, v9, v14
	v_cmp_ne_u32_e32 vcc_lo, v4, v11
	v_lshl_or_b32 v11, v8, 12, v0
	s_wait_alu 0xfffd
	v_cndmask_b32_e64 v4, 0, 1, vcc_lo
	v_cmp_ne_u32_e32 vcc_lo, v9, v12
	v_lshl_or_b32 v12, v10, 12, v2
	s_delay_alu instid0(VALU_DEP_3) | instskip(SKIP_3) | instid1(VALU_DEP_2)
	v_or_b32_e32 v4, v13, v4
	s_wait_alu 0xfffd
	v_cndmask_b32_e64 v9, 0, 1, vcc_lo
	v_cmp_gt_i32_e32 vcc_lo, 1, v8
	v_or_b32_e32 v9, v14, v9
	s_wait_alu 0xfffd
	v_cndmask_b32_e32 v4, v11, v4, vcc_lo
	v_cmp_gt_i32_e32 vcc_lo, 1, v10
	s_delay_alu instid0(VALU_DEP_2) | instskip(SKIP_3) | instid1(VALU_DEP_3)
	v_and_b32_e32 v11, 7, v4
	s_wait_alu 0xfffd
	v_cndmask_b32_e32 v9, v12, v9, vcc_lo
	v_lshrrev_b32_e32 v4, 2, v4
	v_cmp_lt_i32_e32 vcc_lo, 5, v11
	v_cmp_eq_u32_e64 s0, 3, v11
	s_delay_alu instid0(VALU_DEP_4) | instskip(SKIP_1) | instid1(VALU_DEP_3)
	v_and_b32_e32 v12, 7, v9
	v_lshrrev_b32_e32 v9, 2, v9
	s_or_b32 vcc_lo, s0, vcc_lo
	s_delay_alu instid0(VALU_DEP_2)
	v_cmp_lt_i32_e64 s1, 5, v12
	s_wait_alu 0xfffe
	v_add_co_ci_u32_e32 v4, vcc_lo, 0, v4, vcc_lo
	v_cmp_eq_u32_e64 s2, 3, v12
	v_cmp_ne_u32_e32 vcc_lo, 0, v0
	s_wait_alu 0xfffd
	v_cndmask_b32_e64 v0, 0, 1, vcc_lo
	s_delay_alu instid0(VALU_DEP_3)
	s_or_b32 vcc_lo, s2, s1
	s_wait_alu 0xfffe
	v_add_co_ci_u32_e32 v9, vcc_lo, 0, v9, vcc_lo
	v_cmp_ne_u32_e32 vcc_lo, 0, v2
	v_lshl_or_b32 v0, v0, 9, 0x7c00
	s_wait_alu 0xfffd
	v_cndmask_b32_e64 v2, 0, 1, vcc_lo
	v_cmp_gt_i32_e32 vcc_lo, 31, v8
	s_delay_alu instid0(VALU_DEP_2)
	v_lshl_or_b32 v2, v2, 9, 0x7c00
	s_wait_alu 0xfffd
	v_cndmask_b32_e32 v4, 0x7c00, v4, vcc_lo
	v_cmp_gt_i32_e32 vcc_lo, 31, v10
	s_wait_alu 0xfffd
	v_cndmask_b32_e32 v9, 0x7c00, v9, vcc_lo
	v_cmp_eq_u32_e32 vcc_lo, 0x40f, v8
	s_wait_alu 0xfffd
	v_cndmask_b32_e32 v0, v4, v0, vcc_lo
	v_cmp_eq_u32_e32 vcc_lo, 0x40f, v10
	v_lshrrev_b32_e32 v4, 16, v5
	s_delay_alu instid0(VALU_DEP_3) | instskip(SKIP_2) | instid1(VALU_DEP_2)
	v_and_or_b32 v0, 0x8000, v3, v0
	s_wait_alu 0xfffd
	v_cndmask_b32_e32 v2, v9, v2, vcc_lo
	v_and_b32_e32 v0, 0xffff, v0
	s_delay_alu instid0(VALU_DEP_2) | instskip(SKIP_1) | instid1(VALU_DEP_2)
	v_and_or_b32 v2, 0x8000, v4, v2
	v_lshrrev_b32_e32 v4, 16, v1
	v_lshl_or_b32 v0, v2, 16, v0
	v_add_co_u32 v2, vcc_lo, v6, s22
	s_wait_alu 0xfffd
	v_add_co_ci_u32_e32 v3, vcc_lo, s23, v7, vcc_lo
	global_store_b32 v[2:3], v0, off
	global_load_b32 v0, v27, s[20:21] offset:1872
	s_wait_loadcnt 0x0
	v_lshrrev_b32_e32 v5, 16, v0
	s_delay_alu instid0(VALU_DEP_1) | instskip(SKIP_1) | instid1(VALU_DEP_2)
	v_mul_f16_e32 v6, v4, v5
	v_mul_f16_e32 v5, v1, v5
	v_fmac_f16_e32 v6, v1, v0
	s_delay_alu instid0(VALU_DEP_2) | instskip(NEXT) | instid1(VALU_DEP_2)
	v_fma_f16 v0, v0, v4, -v5
	v_cvt_f32_f16_e32 v1, v6
	s_delay_alu instid0(VALU_DEP_2) | instskip(NEXT) | instid1(VALU_DEP_2)
	v_cvt_f32_f16_e32 v4, v0
	v_cvt_f64_f32_e32 v[0:1], v1
	s_delay_alu instid0(VALU_DEP_2) | instskip(NEXT) | instid1(VALU_DEP_2)
	v_cvt_f64_f32_e32 v[4:5], v4
	v_mul_f64_e32 v[0:1], s[24:25], v[0:1]
	s_delay_alu instid0(VALU_DEP_2) | instskip(NEXT) | instid1(VALU_DEP_2)
	v_mul_f64_e32 v[4:5], s[24:25], v[4:5]
	v_and_or_b32 v0, 0x1ff, v1, v0
	s_delay_alu instid0(VALU_DEP_2)
	v_and_or_b32 v4, 0x1ff, v5, v4
	v_lshrrev_b32_e32 v6, 8, v1
	v_bfe_u32 v7, v1, 20, 11
	v_lshrrev_b32_e32 v8, 8, v5
	v_cmp_ne_u32_e32 vcc_lo, 0, v0
	v_bfe_u32 v9, v5, 20, 11
	v_lshrrev_b32_e32 v1, 16, v1
	v_sub_nc_u32_e32 v10, 0x3f1, v7
	v_lshrrev_b32_e32 v5, 16, v5
	s_wait_alu 0xfffd
	v_cndmask_b32_e64 v0, 0, 1, vcc_lo
	v_cmp_ne_u32_e32 vcc_lo, 0, v4
	s_delay_alu instid0(VALU_DEP_2) | instskip(SKIP_3) | instid1(VALU_DEP_2)
	v_and_or_b32 v0, 0xffe, v6, v0
	s_wait_alu 0xfffd
	v_cndmask_b32_e64 v4, 0, 1, vcc_lo
	v_sub_nc_u32_e32 v6, 0x3f1, v9
	v_and_or_b32 v4, 0xffe, v8, v4
	v_med3_i32 v8, v10, 0, 13
	v_or_b32_e32 v10, 0x1000, v0
	s_delay_alu instid0(VALU_DEP_4) | instskip(NEXT) | instid1(VALU_DEP_4)
	v_med3_i32 v6, v6, 0, 13
	v_or_b32_e32 v11, 0x1000, v4
	s_delay_alu instid0(VALU_DEP_3) | instskip(NEXT) | instid1(VALU_DEP_2)
	v_lshrrev_b32_e32 v12, v8, v10
	v_lshrrev_b32_e32 v13, v6, v11
	s_delay_alu instid0(VALU_DEP_2) | instskip(NEXT) | instid1(VALU_DEP_2)
	v_lshlrev_b32_e32 v8, v8, v12
	v_lshlrev_b32_e32 v6, v6, v13
	s_delay_alu instid0(VALU_DEP_2) | instskip(SKIP_2) | instid1(VALU_DEP_3)
	v_cmp_ne_u32_e32 vcc_lo, v8, v10
	s_wait_alu 0xfffd
	v_cndmask_b32_e64 v8, 0, 1, vcc_lo
	v_cmp_ne_u32_e32 vcc_lo, v6, v11
	s_delay_alu instid0(VALU_DEP_2) | instskip(SKIP_3) | instid1(VALU_DEP_2)
	v_or_b32_e32 v8, v12, v8
	v_add_nc_u32_e32 v7, 0xfffffc10, v7
	s_wait_alu 0xfffd
	v_cndmask_b32_e64 v6, 0, 1, vcc_lo
	v_lshl_or_b32 v10, v7, 12, v0
	s_delay_alu instid0(VALU_DEP_2) | instskip(SKIP_2) | instid1(VALU_DEP_2)
	v_or_b32_e32 v6, v13, v6
	v_add_nc_u32_e32 v9, 0xfffffc10, v9
	v_cmp_gt_i32_e32 vcc_lo, 1, v7
	v_lshl_or_b32 v11, v9, 12, v4
	s_wait_alu 0xfffd
	v_cndmask_b32_e32 v8, v10, v8, vcc_lo
	v_cmp_gt_i32_e32 vcc_lo, 1, v9
	s_delay_alu instid0(VALU_DEP_2)
	v_and_b32_e32 v10, 7, v8
	s_wait_alu 0xfffd
	v_cndmask_b32_e32 v6, v11, v6, vcc_lo
	v_cmp_ne_u32_e32 vcc_lo, 0, v0
	v_lshrrev_b32_e32 v8, 2, v8
	v_cmp_eq_u32_e64 s0, 3, v10
	s_wait_alu 0xfffd
	v_cndmask_b32_e64 v0, 0, 1, vcc_lo
	v_cmp_ne_u32_e32 vcc_lo, 0, v4
	s_delay_alu instid0(VALU_DEP_2) | instskip(SKIP_3) | instid1(VALU_DEP_2)
	v_lshl_or_b32 v0, v0, 9, 0x7c00
	s_wait_alu 0xfffd
	v_cndmask_b32_e64 v4, 0, 1, vcc_lo
	v_cmp_lt_i32_e32 vcc_lo, 5, v10
	v_lshl_or_b32 v4, v4, 9, 0x7c00
	s_or_b32 vcc_lo, s0, vcc_lo
	s_wait_alu 0xfffe
	v_add_co_ci_u32_e32 v8, vcc_lo, 0, v8, vcc_lo
	v_and_b32_e32 v11, 7, v6
	v_lshrrev_b32_e32 v6, 2, v6
	s_delay_alu instid0(VALU_DEP_2) | instskip(SKIP_1) | instid1(VALU_DEP_1)
	v_cmp_lt_i32_e64 s1, 5, v11
	v_cmp_eq_u32_e64 s2, 3, v11
	s_or_b32 vcc_lo, s2, s1
	s_wait_alu 0xfffe
	v_add_co_ci_u32_e32 v6, vcc_lo, 0, v6, vcc_lo
	v_cmp_gt_i32_e32 vcc_lo, 31, v7
	s_wait_alu 0xfffd
	v_cndmask_b32_e32 v8, 0x7c00, v8, vcc_lo
	v_cmp_gt_i32_e32 vcc_lo, 31, v9
	s_wait_alu 0xfffd
	v_cndmask_b32_e32 v6, 0x7c00, v6, vcc_lo
	v_cmp_eq_u32_e32 vcc_lo, 0x40f, v7
	s_wait_alu 0xfffd
	v_cndmask_b32_e32 v0, v8, v0, vcc_lo
	v_cmp_eq_u32_e32 vcc_lo, 0x40f, v9
	s_delay_alu instid0(VALU_DEP_2) | instskip(SKIP_2) | instid1(VALU_DEP_1)
	v_and_or_b32 v0, 0x8000, v1, v0
	s_wait_alu 0xfffd
	v_cndmask_b32_e32 v4, v6, v4, vcc_lo
	v_and_or_b32 v4, 0x8000, v5, v4
	s_delay_alu instid0(VALU_DEP_3) | instskip(SKIP_3) | instid1(VALU_DEP_3)
	v_and_b32_e32 v5, 0xffff, v0
	v_add_co_u32 v0, vcc_lo, v2, s22
	s_wait_alu 0xfffd
	v_add_co_ci_u32_e32 v1, vcc_lo, s23, v3, vcc_lo
	v_lshl_or_b32 v2, v4, 16, v5
	global_store_b32 v[0:1], v2, off
	global_load_b32 v4, v27, s[20:21] offset:2016
	v_add_nc_u32_e32 v2, 0x600, v27
	ds_load_2addr_b32 v[2:3], v2 offset0:120 offset1:156
	s_wait_dscnt 0x0
	v_lshrrev_b32_e32 v5, 16, v2
	s_wait_loadcnt 0x0
	v_lshrrev_b32_e32 v6, 16, v4
	s_delay_alu instid0(VALU_DEP_1) | instskip(SKIP_1) | instid1(VALU_DEP_2)
	v_mul_f16_e32 v7, v5, v6
	v_mul_f16_e32 v6, v2, v6
	v_fmac_f16_e32 v7, v2, v4
	s_delay_alu instid0(VALU_DEP_2) | instskip(NEXT) | instid1(VALU_DEP_2)
	v_fma_f16 v2, v4, v5, -v6
	v_cvt_f32_f16_e32 v4, v7
	s_delay_alu instid0(VALU_DEP_2) | instskip(NEXT) | instid1(VALU_DEP_2)
	v_cvt_f32_f16_e32 v2, v2
	v_cvt_f64_f32_e32 v[4:5], v4
	s_delay_alu instid0(VALU_DEP_2) | instskip(NEXT) | instid1(VALU_DEP_2)
	v_cvt_f64_f32_e32 v[6:7], v2
	v_mul_f64_e32 v[4:5], s[24:25], v[4:5]
	s_delay_alu instid0(VALU_DEP_2) | instskip(NEXT) | instid1(VALU_DEP_2)
	v_mul_f64_e32 v[6:7], s[24:25], v[6:7]
	v_and_or_b32 v2, 0x1ff, v5, v4
	s_delay_alu instid0(VALU_DEP_2)
	v_and_or_b32 v6, 0x1ff, v7, v6
	v_lshrrev_b32_e32 v4, 8, v5
	v_bfe_u32 v8, v5, 20, 11
	v_lshrrev_b32_e32 v9, 8, v7
	v_cmp_ne_u32_e32 vcc_lo, 0, v2
	v_bfe_u32 v10, v7, 20, 11
	v_lshrrev_b32_e32 v5, 16, v5
	v_sub_nc_u32_e32 v11, 0x3f1, v8
	v_add_nc_u32_e32 v8, 0xfffffc10, v8
	s_wait_alu 0xfffd
	v_cndmask_b32_e64 v2, 0, 1, vcc_lo
	v_cmp_ne_u32_e32 vcc_lo, 0, v6
	v_lshrrev_b32_e32 v7, 16, v7
	s_delay_alu instid0(VALU_DEP_3) | instskip(SKIP_4) | instid1(VALU_DEP_3)
	v_and_or_b32 v2, 0xffe, v4, v2
	s_wait_alu 0xfffd
	v_cndmask_b32_e64 v6, 0, 1, vcc_lo
	v_sub_nc_u32_e32 v4, 0x3f1, v10
	v_add_nc_u32_e32 v10, 0xfffffc10, v10
	v_and_or_b32 v6, 0xffe, v9, v6
	v_med3_i32 v9, v11, 0, 13
	v_or_b32_e32 v11, 0x1000, v2
	v_med3_i32 v4, v4, 0, 13
	s_delay_alu instid0(VALU_DEP_4) | instskip(NEXT) | instid1(VALU_DEP_3)
	v_or_b32_e32 v12, 0x1000, v6
	v_lshrrev_b32_e32 v13, v9, v11
	s_delay_alu instid0(VALU_DEP_2) | instskip(NEXT) | instid1(VALU_DEP_2)
	v_lshrrev_b32_e32 v14, v4, v12
	v_lshlrev_b32_e32 v9, v9, v13
	s_delay_alu instid0(VALU_DEP_2) | instskip(NEXT) | instid1(VALU_DEP_2)
	v_lshlrev_b32_e32 v4, v4, v14
	v_cmp_ne_u32_e32 vcc_lo, v9, v11
	v_lshl_or_b32 v11, v8, 12, v2
	s_wait_alu 0xfffd
	v_cndmask_b32_e64 v9, 0, 1, vcc_lo
	v_cmp_ne_u32_e32 vcc_lo, v4, v12
	v_lshl_or_b32 v12, v10, 12, v6
	s_delay_alu instid0(VALU_DEP_3) | instskip(SKIP_3) | instid1(VALU_DEP_2)
	v_or_b32_e32 v9, v13, v9
	s_wait_alu 0xfffd
	v_cndmask_b32_e64 v4, 0, 1, vcc_lo
	v_cmp_gt_i32_e32 vcc_lo, 1, v8
	v_or_b32_e32 v4, v14, v4
	s_wait_alu 0xfffd
	v_cndmask_b32_e32 v9, v11, v9, vcc_lo
	v_cmp_gt_i32_e32 vcc_lo, 1, v10
	s_wait_alu 0xfffd
	s_delay_alu instid0(VALU_DEP_2) | instskip(SKIP_2) | instid1(VALU_DEP_3)
	v_dual_cndmask_b32 v4, v12, v4 :: v_dual_and_b32 v11, 7, v9
	v_cmp_ne_u32_e32 vcc_lo, 0, v2
	v_lshrrev_b32_e32 v9, 2, v9
	v_cmp_eq_u32_e64 s0, 3, v11
	s_delay_alu instid0(VALU_DEP_4)
	v_and_b32_e32 v12, 7, v4
	s_wait_alu 0xfffd
	v_cndmask_b32_e64 v2, 0, 1, vcc_lo
	v_cmp_ne_u32_e32 vcc_lo, 0, v6
	v_lshrrev_b32_e32 v4, 2, v4
	v_cmp_lt_i32_e64 s1, 5, v12
	v_cmp_eq_u32_e64 s2, 3, v12
	s_wait_alu 0xfffd
	v_cndmask_b32_e64 v6, 0, 1, vcc_lo
	v_cmp_lt_i32_e32 vcc_lo, 5, v11
	v_lshl_or_b32 v2, v2, 9, 0x7c00
	s_delay_alu instid0(VALU_DEP_3)
	v_lshl_or_b32 v6, v6, 9, 0x7c00
	s_or_b32 vcc_lo, s0, vcc_lo
	s_wait_alu 0xfffe
	v_add_co_ci_u32_e32 v9, vcc_lo, 0, v9, vcc_lo
	s_or_b32 vcc_lo, s2, s1
	s_wait_alu 0xfffe
	v_add_co_ci_u32_e32 v4, vcc_lo, 0, v4, vcc_lo
	v_cmp_gt_i32_e32 vcc_lo, 31, v8
	s_wait_alu 0xfffd
	v_cndmask_b32_e32 v9, 0x7c00, v9, vcc_lo
	v_cmp_gt_i32_e32 vcc_lo, 31, v10
	s_wait_alu 0xfffd
	v_cndmask_b32_e32 v4, 0x7c00, v4, vcc_lo
	v_cmp_eq_u32_e32 vcc_lo, 0x40f, v8
	s_wait_alu 0xfffd
	v_cndmask_b32_e32 v2, v9, v2, vcc_lo
	v_cmp_eq_u32_e32 vcc_lo, 0x40f, v10
	s_delay_alu instid0(VALU_DEP_2)
	v_and_or_b32 v2, 0x8000, v5, v2
	s_wait_alu 0xfffd
	v_cndmask_b32_e32 v4, v4, v6, vcc_lo
	v_add_co_u32 v0, vcc_lo, v0, s22
	s_wait_alu 0xfffd
	v_add_co_ci_u32_e32 v1, vcc_lo, s23, v1, vcc_lo
	s_delay_alu instid0(VALU_DEP_3) | instskip(SKIP_1) | instid1(VALU_DEP_1)
	v_and_or_b32 v4, 0x8000, v7, v4
	v_and_b32_e32 v2, 0xffff, v2
	v_lshl_or_b32 v2, v4, 16, v2
	v_lshrrev_b32_e32 v4, 16, v3
	global_store_b32 v[0:1], v2, off
	global_load_b32 v2, v27, s[20:21] offset:2160
	s_wait_loadcnt 0x0
	v_lshrrev_b32_e32 v5, 16, v2
	s_delay_alu instid0(VALU_DEP_1) | instskip(SKIP_1) | instid1(VALU_DEP_2)
	v_mul_f16_e32 v6, v4, v5
	v_mul_f16_e32 v5, v3, v5
	v_fmac_f16_e32 v6, v3, v2
	s_delay_alu instid0(VALU_DEP_2) | instskip(NEXT) | instid1(VALU_DEP_2)
	v_fma_f16 v2, v2, v4, -v5
	v_cvt_f32_f16_e32 v3, v6
	s_delay_alu instid0(VALU_DEP_2) | instskip(NEXT) | instid1(VALU_DEP_2)
	v_cvt_f32_f16_e32 v4, v2
	v_cvt_f64_f32_e32 v[2:3], v3
	s_delay_alu instid0(VALU_DEP_2) | instskip(NEXT) | instid1(VALU_DEP_2)
	v_cvt_f64_f32_e32 v[4:5], v4
	v_mul_f64_e32 v[2:3], s[24:25], v[2:3]
	s_delay_alu instid0(VALU_DEP_2) | instskip(NEXT) | instid1(VALU_DEP_2)
	v_mul_f64_e32 v[4:5], s[24:25], v[4:5]
	v_and_or_b32 v2, 0x1ff, v3, v2
	s_delay_alu instid0(VALU_DEP_2)
	v_and_or_b32 v4, 0x1ff, v5, v4
	v_lshrrev_b32_e32 v6, 8, v3
	v_bfe_u32 v7, v3, 20, 11
	v_lshrrev_b32_e32 v8, 8, v5
	v_cmp_ne_u32_e32 vcc_lo, 0, v2
	v_bfe_u32 v9, v5, 20, 11
	v_lshrrev_b32_e32 v3, 16, v3
	v_sub_nc_u32_e32 v10, 0x3f1, v7
	v_add_nc_u32_e32 v7, 0xfffffc10, v7
	s_wait_alu 0xfffd
	v_cndmask_b32_e64 v2, 0, 1, vcc_lo
	v_cmp_ne_u32_e32 vcc_lo, 0, v4
	v_lshrrev_b32_e32 v5, 16, v5
	s_delay_alu instid0(VALU_DEP_3) | instskip(SKIP_4) | instid1(VALU_DEP_3)
	v_and_or_b32 v2, 0xffe, v6, v2
	s_wait_alu 0xfffd
	v_cndmask_b32_e64 v4, 0, 1, vcc_lo
	v_sub_nc_u32_e32 v6, 0x3f1, v9
	v_add_nc_u32_e32 v9, 0xfffffc10, v9
	v_and_or_b32 v4, 0xffe, v8, v4
	v_med3_i32 v8, v10, 0, 13
	v_or_b32_e32 v10, 0x1000, v2
	v_med3_i32 v6, v6, 0, 13
	s_delay_alu instid0(VALU_DEP_4) | instskip(NEXT) | instid1(VALU_DEP_3)
	v_or_b32_e32 v11, 0x1000, v4
	v_lshrrev_b32_e32 v12, v8, v10
	s_delay_alu instid0(VALU_DEP_2) | instskip(NEXT) | instid1(VALU_DEP_2)
	v_lshrrev_b32_e32 v13, v6, v11
	v_lshlrev_b32_e32 v8, v8, v12
	s_delay_alu instid0(VALU_DEP_2) | instskip(NEXT) | instid1(VALU_DEP_2)
	v_lshlrev_b32_e32 v6, v6, v13
	v_cmp_ne_u32_e32 vcc_lo, v8, v10
	v_lshl_or_b32 v10, v7, 12, v2
	s_wait_alu 0xfffd
	v_cndmask_b32_e64 v8, 0, 1, vcc_lo
	v_cmp_ne_u32_e32 vcc_lo, v6, v11
	v_lshl_or_b32 v11, v9, 12, v4
	s_delay_alu instid0(VALU_DEP_3) | instskip(SKIP_3) | instid1(VALU_DEP_2)
	v_or_b32_e32 v8, v12, v8
	s_wait_alu 0xfffd
	v_cndmask_b32_e64 v6, 0, 1, vcc_lo
	v_cmp_gt_i32_e32 vcc_lo, 1, v7
	v_or_b32_e32 v6, v13, v6
	s_wait_alu 0xfffd
	v_cndmask_b32_e32 v8, v10, v8, vcc_lo
	v_cmp_gt_i32_e32 vcc_lo, 1, v9
	s_delay_alu instid0(VALU_DEP_2)
	v_and_b32_e32 v10, 7, v8
	s_wait_alu 0xfffd
	v_cndmask_b32_e32 v6, v11, v6, vcc_lo
	v_cmp_ne_u32_e32 vcc_lo, 0, v2
	v_lshrrev_b32_e32 v8, 2, v8
	v_cmp_eq_u32_e64 s0, 3, v10
	s_delay_alu instid0(VALU_DEP_4)
	v_and_b32_e32 v11, 7, v6
	s_wait_alu 0xfffd
	v_cndmask_b32_e64 v2, 0, 1, vcc_lo
	v_cmp_ne_u32_e32 vcc_lo, 0, v4
	v_lshrrev_b32_e32 v6, 2, v6
	v_cmp_lt_i32_e64 s1, 5, v11
	v_cmp_eq_u32_e64 s2, 3, v11
	s_wait_alu 0xfffd
	v_cndmask_b32_e64 v4, 0, 1, vcc_lo
	v_cmp_lt_i32_e32 vcc_lo, 5, v10
	v_lshl_or_b32 v2, v2, 9, 0x7c00
	s_delay_alu instid0(VALU_DEP_3)
	v_lshl_or_b32 v4, v4, 9, 0x7c00
	s_or_b32 vcc_lo, s0, vcc_lo
	s_wait_alu 0xfffe
	v_add_co_ci_u32_e32 v8, vcc_lo, 0, v8, vcc_lo
	s_or_b32 vcc_lo, s2, s1
	s_wait_alu 0xfffe
	v_add_co_ci_u32_e32 v6, vcc_lo, 0, v6, vcc_lo
	v_cmp_gt_i32_e32 vcc_lo, 31, v7
	s_wait_alu 0xfffd
	v_cndmask_b32_e32 v8, 0x7c00, v8, vcc_lo
	v_cmp_gt_i32_e32 vcc_lo, 31, v9
	s_wait_alu 0xfffd
	v_cndmask_b32_e32 v6, 0x7c00, v6, vcc_lo
	v_cmp_eq_u32_e32 vcc_lo, 0x40f, v7
	s_wait_alu 0xfffd
	v_cndmask_b32_e32 v2, v8, v2, vcc_lo
	v_cmp_eq_u32_e32 vcc_lo, 0x40f, v9
	s_delay_alu instid0(VALU_DEP_2)
	v_and_or_b32 v2, 0x8000, v3, v2
	s_wait_alu 0xfffd
	v_cndmask_b32_e32 v4, v6, v4, vcc_lo
	v_add_co_u32 v0, vcc_lo, v0, s22
	s_wait_alu 0xfffd
	v_add_co_ci_u32_e32 v1, vcc_lo, s23, v1, vcc_lo
	s_delay_alu instid0(VALU_DEP_3) | instskip(SKIP_1) | instid1(VALU_DEP_1)
	v_and_or_b32 v3, 0x8000, v5, v4
	v_and_b32_e32 v2, 0xffff, v2
	v_lshl_or_b32 v2, v3, 16, v2
	global_store_b32 v[0:1], v2, off
.LBB0_15:
	s_nop 0
	s_sendmsg sendmsg(MSG_DEALLOC_VGPRS)
	s_endpgm
	.section	.rodata,"a",@progbits
	.p2align	6, 0x0
	.amdhsa_kernel bluestein_single_back_len576_dim1_half_op_CI_CI
		.amdhsa_group_segment_fixed_size 2304
		.amdhsa_private_segment_fixed_size 0
		.amdhsa_kernarg_size 104
		.amdhsa_user_sgpr_count 2
		.amdhsa_user_sgpr_dispatch_ptr 0
		.amdhsa_user_sgpr_queue_ptr 0
		.amdhsa_user_sgpr_kernarg_segment_ptr 1
		.amdhsa_user_sgpr_dispatch_id 0
		.amdhsa_user_sgpr_private_segment_size 0
		.amdhsa_wavefront_size32 1
		.amdhsa_uses_dynamic_stack 0
		.amdhsa_enable_private_segment 0
		.amdhsa_system_sgpr_workgroup_id_x 1
		.amdhsa_system_sgpr_workgroup_id_y 0
		.amdhsa_system_sgpr_workgroup_id_z 0
		.amdhsa_system_sgpr_workgroup_info 0
		.amdhsa_system_vgpr_workitem_id 0
		.amdhsa_next_free_vgpr 95
		.amdhsa_next_free_sgpr 26
		.amdhsa_reserve_vcc 1
		.amdhsa_float_round_mode_32 0
		.amdhsa_float_round_mode_16_64 0
		.amdhsa_float_denorm_mode_32 3
		.amdhsa_float_denorm_mode_16_64 3
		.amdhsa_fp16_overflow 0
		.amdhsa_workgroup_processor_mode 1
		.amdhsa_memory_ordered 1
		.amdhsa_forward_progress 0
		.amdhsa_round_robin_scheduling 0
		.amdhsa_exception_fp_ieee_invalid_op 0
		.amdhsa_exception_fp_denorm_src 0
		.amdhsa_exception_fp_ieee_div_zero 0
		.amdhsa_exception_fp_ieee_overflow 0
		.amdhsa_exception_fp_ieee_underflow 0
		.amdhsa_exception_fp_ieee_inexact 0
		.amdhsa_exception_int_div_zero 0
	.end_amdhsa_kernel
	.text
.Lfunc_end0:
	.size	bluestein_single_back_len576_dim1_half_op_CI_CI, .Lfunc_end0-bluestein_single_back_len576_dim1_half_op_CI_CI
                                        ; -- End function
	.section	.AMDGPU.csdata,"",@progbits
; Kernel info:
; codeLenInByte = 18248
; NumSgprs: 28
; NumVgprs: 95
; ScratchSize: 0
; MemoryBound: 0
; FloatMode: 240
; IeeeMode: 1
; LDSByteSize: 2304 bytes/workgroup (compile time only)
; SGPRBlocks: 3
; VGPRBlocks: 11
; NumSGPRsForWavesPerEU: 28
; NumVGPRsForWavesPerEU: 95
; Occupancy: 16
; WaveLimiterHint : 1
; COMPUTE_PGM_RSRC2:SCRATCH_EN: 0
; COMPUTE_PGM_RSRC2:USER_SGPR: 2
; COMPUTE_PGM_RSRC2:TRAP_HANDLER: 0
; COMPUTE_PGM_RSRC2:TGID_X_EN: 1
; COMPUTE_PGM_RSRC2:TGID_Y_EN: 0
; COMPUTE_PGM_RSRC2:TGID_Z_EN: 0
; COMPUTE_PGM_RSRC2:TIDIG_COMP_CNT: 0
	.text
	.p2alignl 7, 3214868480
	.fill 96, 4, 3214868480
	.type	__hip_cuid_42681b91938b3f62,@object ; @__hip_cuid_42681b91938b3f62
	.section	.bss,"aw",@nobits
	.globl	__hip_cuid_42681b91938b3f62
__hip_cuid_42681b91938b3f62:
	.byte	0                               ; 0x0
	.size	__hip_cuid_42681b91938b3f62, 1

	.ident	"AMD clang version 19.0.0git (https://github.com/RadeonOpenCompute/llvm-project roc-6.4.0 25133 c7fe45cf4b819c5991fe208aaa96edf142730f1d)"
	.section	".note.GNU-stack","",@progbits
	.addrsig
	.addrsig_sym __hip_cuid_42681b91938b3f62
	.amdgpu_metadata
---
amdhsa.kernels:
  - .args:
      - .actual_access:  read_only
        .address_space:  global
        .offset:         0
        .size:           8
        .value_kind:     global_buffer
      - .actual_access:  read_only
        .address_space:  global
        .offset:         8
        .size:           8
        .value_kind:     global_buffer
      - .actual_access:  read_only
        .address_space:  global
        .offset:         16
        .size:           8
        .value_kind:     global_buffer
      - .actual_access:  read_only
        .address_space:  global
        .offset:         24
        .size:           8
        .value_kind:     global_buffer
      - .actual_access:  read_only
        .address_space:  global
        .offset:         32
        .size:           8
        .value_kind:     global_buffer
      - .offset:         40
        .size:           8
        .value_kind:     by_value
      - .address_space:  global
        .offset:         48
        .size:           8
        .value_kind:     global_buffer
      - .address_space:  global
        .offset:         56
        .size:           8
        .value_kind:     global_buffer
      - .address_space:  global
        .offset:         64
        .size:           8
        .value_kind:     global_buffer
      - .address_space:  global
        .offset:         72
        .size:           8
        .value_kind:     global_buffer
      - .offset:         80
        .size:           4
        .value_kind:     by_value
      - .address_space:  global
        .offset:         88
        .size:           8
        .value_kind:     global_buffer
      - .address_space:  global
        .offset:         96
        .size:           8
        .value_kind:     global_buffer
    .group_segment_fixed_size: 2304
    .kernarg_segment_align: 8
    .kernarg_segment_size: 104
    .language:       OpenCL C
    .language_version:
      - 2
      - 0
    .max_flat_workgroup_size: 96
    .name:           bluestein_single_back_len576_dim1_half_op_CI_CI
    .private_segment_fixed_size: 0
    .sgpr_count:     28
    .sgpr_spill_count: 0
    .symbol:         bluestein_single_back_len576_dim1_half_op_CI_CI.kd
    .uniform_work_group_size: 1
    .uses_dynamic_stack: false
    .vgpr_count:     95
    .vgpr_spill_count: 0
    .wavefront_size: 32
    .workgroup_processor_mode: 1
amdhsa.target:   amdgcn-amd-amdhsa--gfx1201
amdhsa.version:
  - 1
  - 2
...

	.end_amdgpu_metadata
